;; amdgpu-corpus repo=ROCm/rocFFT kind=compiled arch=gfx906 opt=O3
	.text
	.amdgcn_target "amdgcn-amd-amdhsa--gfx906"
	.amdhsa_code_object_version 6
	.protected	bluestein_single_back_len2000_dim1_half_op_CI_CI ; -- Begin function bluestein_single_back_len2000_dim1_half_op_CI_CI
	.globl	bluestein_single_back_len2000_dim1_half_op_CI_CI
	.p2align	8
	.type	bluestein_single_back_len2000_dim1_half_op_CI_CI,@function
bluestein_single_back_len2000_dim1_half_op_CI_CI: ; @bluestein_single_back_len2000_dim1_half_op_CI_CI
; %bb.0:
	s_load_dwordx4 s[12:15], s[4:5], 0x28
	v_mul_u32_u24_e32 v1, 0x20d, v0
	v_add_u32_sdwa v49, s6, v1 dst_sel:DWORD dst_unused:UNUSED_PAD src0_sel:DWORD src1_sel:WORD_1
	v_mov_b32_e32 v50, 0
	s_waitcnt lgkmcnt(0)
	v_cmp_gt_u64_e32 vcc, s[12:13], v[49:50]
	s_and_saveexec_b64 s[0:1], vcc
	s_cbranch_execz .LBB0_31
; %bb.1:
	s_load_dwordx4 s[8:11], s[4:5], 0x18
	s_load_dwordx2 s[12:13], s[4:5], 0x0
	s_movk_i32 s6, 0x7d
	v_mul_lo_u16_sdwa v1, v1, s6 dst_sel:DWORD dst_unused:UNUSED_PAD src0_sel:WORD_1 src1_sel:DWORD
	v_sub_u16_e32 v78, v0, v1
	s_waitcnt lgkmcnt(0)
	s_load_dwordx4 s[0:3], s[8:9], 0x0
	v_lshlrev_b32_e32 v64, 2, v78
	global_load_dword v80, v64, s[12:13]
	s_movk_i32 s16, 0x1000
	s_waitcnt lgkmcnt(0)
	v_mad_u64_u32 v[0:1], s[6:7], s2, v49, 0
	v_mad_u64_u32 v[2:3], s[6:7], s0, v78, 0
	s_load_dwordx2 s[6:7], s[4:5], 0x38
	v_mad_u64_u32 v[4:5], s[2:3], s3, v49, v[1:2]
	v_mad_u64_u32 v[5:6], s[2:3], s1, v78, v[3:4]
	v_mov_b32_e32 v1, v4
	v_lshlrev_b64 v[0:1], 2, v[0:1]
	v_mov_b32_e32 v6, s15
	v_mov_b32_e32 v3, v5
	v_add_co_u32_e32 v4, vcc, s14, v0
	v_addc_co_u32_e32 v5, vcc, v6, v1, vcc
	v_lshlrev_b64 v[0:1], 2, v[2:3]
	s_mul_i32 s2, s1, 0x190
	v_add_co_u32_e32 v0, vcc, v4, v0
	v_addc_co_u32_e32 v1, vcc, v5, v1, vcc
	global_load_dword v4, v[0:1], off
	s_mul_hi_u32 s3, s0, 0x190
	s_add_i32 s3, s3, s2
	s_mul_i32 s2, s0, 0x190
	s_lshl_b64 s[14:15], s[2:3], 2
	v_mov_b32_e32 v5, s15
	v_add_co_u32_e32 v0, vcc, s14, v0
	v_addc_co_u32_e32 v1, vcc, v1, v5, vcc
	global_load_dword v6, v[0:1], off
	global_load_dword v79, v64, s[12:13] offset:1600
	v_mov_b32_e32 v2, s13
	v_add_co_u32_e64 v47, s[2:3], s12, v64
	v_addc_co_u32_e64 v48, vcc, 0, v2, s[2:3]
	v_add_co_u32_e32 v2, vcc, s14, v0
	v_addc_co_u32_e32 v3, vcc, v1, v5, vcc
	s_load_dwordx4 s[8:11], s[10:11], 0x0
	global_load_dword v74, v64, s[12:13] offset:500
	global_load_dword v73, v64, s[12:13] offset:2100
	;; [unrolled: 1-line block ×6, first 2 shown]
	global_load_dword v7, v[2:3], off
	v_add_co_u32_e32 v0, vcc, s16, v47
	v_addc_co_u32_e32 v1, vcc, 0, v48, vcc
	v_add_co_u32_e32 v2, vcc, s14, v2
	v_addc_co_u32_e32 v3, vcc, v3, v5, vcc
	global_load_dword v76, v[0:1], off offset:704
	global_load_dword v75, v[0:1], off offset:2304
	global_load_dword v9, v[2:3], off
	s_mul_hi_u32 s12, s0, 0xfffffa3d
	v_add_co_u32_e32 v2, vcc, s14, v2
	s_mulk_i32 s1, 0xfa3d
	s_mul_i32 s16, s0, 0xfffffa3d
	s_sub_i32 s0, s12, s0
	v_addc_co_u32_e32 v3, vcc, v3, v5, vcc
	s_add_i32 s17, s0, s1
	global_load_dword v10, v[2:3], off
	s_lshl_b64 s[16:17], s[16:17], 2
	v_mov_b32_e32 v8, s17
	v_add_co_u32_e32 v2, vcc, s16, v2
	v_addc_co_u32_e32 v3, vcc, v3, v8, vcc
	global_load_dword v11, v[2:3], off
	v_add_co_u32_e32 v2, vcc, s14, v2
	v_addc_co_u32_e32 v3, vcc, v3, v5, vcc
	global_load_dword v12, v[2:3], off
	v_add_co_u32_e32 v2, vcc, s14, v2
	v_addc_co_u32_e32 v3, vcc, v3, v5, vcc
	v_cmp_gt_u16_e64 s[0:1], 25, v78
	s_waitcnt vmcnt(15)
	v_lshrrev_b32_e32 v13, 16, v4
	v_mul_f16_sdwa v14, v80, v4 dst_sel:DWORD dst_unused:UNUSED_PAD src0_sel:WORD_1 src1_sel:DWORD
	v_mul_f16_sdwa v15, v80, v13 dst_sel:DWORD dst_unused:UNUSED_PAD src0_sel:WORD_1 src1_sel:DWORD
	v_fma_f16 v13, v80, v13, -v14
	v_fma_f16 v4, v80, v4, v15
	v_pack_b32_f16 v4, v4, v13
	global_load_dword v13, v[2:3], off
	v_add_co_u32_e32 v2, vcc, s14, v2
	v_addc_co_u32_e32 v3, vcc, v3, v5, vcc
	global_load_dword v16, v[2:3], off
	global_load_dword v71, v[0:1], off offset:1204
	v_add_co_u32_e32 v2, vcc, s14, v2
	v_addc_co_u32_e32 v3, vcc, v3, v5, vcc
	global_load_dword v17, v[2:3], off
	global_load_dword v70, v[0:1], off offset:2804
	v_add_co_u32_e32 v2, vcc, s16, v2
	v_addc_co_u32_e32 v3, vcc, v3, v8, vcc
	global_load_dword v8, v[2:3], off
	s_waitcnt vmcnt(20)
	v_lshrrev_b32_e32 v14, 16, v6
	s_waitcnt vmcnt(19)
	v_mul_f16_sdwa v15, v79, v14 dst_sel:DWORD dst_unused:UNUSED_PAD src0_sel:WORD_1 src1_sel:DWORD
	v_add_co_u32_e32 v2, vcc, s14, v2
	v_fma_f16 v15, v79, v6, v15
	v_mul_f16_sdwa v6, v79, v6 dst_sel:DWORD dst_unused:UNUSED_PAD src0_sel:WORD_1 src1_sel:DWORD
	v_addc_co_u32_e32 v3, vcc, v3, v5, vcc
	v_fma_f16 v6, v79, v14, -v6
	global_load_dword v14, v[2:3], off
	v_add_co_u32_e32 v2, vcc, s14, v2
	v_addc_co_u32_e32 v3, vcc, v3, v5, vcc
	v_pack_b32_f16 v6, v15, v6
	global_load_dword v15, v[2:3], off
	global_load_dword v65, v[0:1], off offset:3304
	global_load_dword v66, v[0:1], off offset:1704
	;; [unrolled: 1-line block ×3, first 2 shown]
	v_add_co_u32_e32 v2, vcc, s14, v2
	v_addc_co_u32_e32 v3, vcc, v3, v5, vcc
	global_load_dword v18, v[2:3], off
	v_add_co_u32_e32 v2, vcc, s14, v2
	v_addc_co_u32_e32 v3, vcc, v3, v5, vcc
	global_load_dword v5, v[2:3], off
	ds_write_b32 v64, v6 offset:1600
	s_waitcnt vmcnt(19)
	v_lshrrev_b32_e32 v6, 16, v7
	v_mul_f16_sdwa v19, v77, v6 dst_sel:DWORD dst_unused:UNUSED_PAD src0_sel:WORD_1 src1_sel:DWORD
	v_fma_f16 v19, v77, v7, v19
	v_mul_f16_sdwa v7, v77, v7 dst_sel:DWORD dst_unused:UNUSED_PAD src0_sel:WORD_1 src1_sel:DWORD
	v_fma_f16 v6, v77, v6, -v7
	v_pack_b32_f16 v6, v19, v6
	ds_write_b32 v64, v6 offset:3200
	s_waitcnt vmcnt(16)
	v_lshrrev_b32_e32 v6, 16, v9
	v_mul_f16_sdwa v7, v76, v6 dst_sel:DWORD dst_unused:UNUSED_PAD src0_sel:WORD_1 src1_sel:DWORD
	v_fma_f16 v7, v76, v9, v7
	v_mul_f16_sdwa v9, v76, v9 dst_sel:DWORD dst_unused:UNUSED_PAD src0_sel:WORD_1 src1_sel:DWORD
	v_fma_f16 v6, v76, v6, -v9
	v_pack_b32_f16 v6, v7, v6
	ds_write_b32 v64, v6 offset:4800
	s_waitcnt vmcnt(15)
	v_lshrrev_b32_e32 v6, 16, v10
	v_mul_f16_sdwa v7, v75, v6 dst_sel:DWORD dst_unused:UNUSED_PAD src0_sel:WORD_1 src1_sel:DWORD
	v_mul_f16_sdwa v9, v75, v10 dst_sel:DWORD dst_unused:UNUSED_PAD src0_sel:WORD_1 src1_sel:DWORD
	v_fma_f16 v7, v75, v10, v7
	v_fma_f16 v6, v75, v6, -v9
	v_pack_b32_f16 v6, v7, v6
	ds_write_b32 v64, v6 offset:6400
	s_waitcnt vmcnt(14)
	v_lshrrev_b32_e32 v6, 16, v11
	v_mul_f16_sdwa v7, v74, v6 dst_sel:DWORD dst_unused:UNUSED_PAD src0_sel:WORD_1 src1_sel:DWORD
	v_mul_f16_sdwa v9, v74, v11 dst_sel:DWORD dst_unused:UNUSED_PAD src0_sel:WORD_1 src1_sel:DWORD
	v_fma_f16 v7, v74, v11, v7
	v_fma_f16 v6, v74, v6, -v9
	v_pack_b32_f16 v6, v7, v6
	ds_write2_b32 v64, v4, v6 offset1:125
	s_waitcnt vmcnt(13)
	v_lshrrev_b32_e32 v4, 16, v12
	v_mul_f16_sdwa v6, v73, v4 dst_sel:DWORD dst_unused:UNUSED_PAD src0_sel:WORD_1 src1_sel:DWORD
	v_mul_f16_sdwa v7, v73, v12 dst_sel:DWORD dst_unused:UNUSED_PAD src0_sel:WORD_1 src1_sel:DWORD
	v_fma_f16 v6, v73, v12, v6
	v_fma_f16 v4, v73, v4, -v7
	v_pack_b32_f16 v6, v6, v4
	s_waitcnt vmcnt(12)
	v_lshrrev_b32_e32 v4, 16, v13
	v_mul_f16_sdwa v7, v72, v4 dst_sel:DWORD dst_unused:UNUSED_PAD src0_sel:WORD_1 src1_sel:DWORD
	v_mul_f16_sdwa v9, v72, v13 dst_sel:DWORD dst_unused:UNUSED_PAD src0_sel:WORD_1 src1_sel:DWORD
	v_fma_f16 v7, v72, v13, v7
	v_fma_f16 v4, v72, v4, -v9
	v_pack_b32_f16 v7, v7, v4
	s_waitcnt vmcnt(11)
	v_lshrrev_b32_e32 v4, 16, v16
	s_waitcnt vmcnt(10)
	v_mul_f16_sdwa v9, v71, v4 dst_sel:DWORD dst_unused:UNUSED_PAD src0_sel:WORD_1 src1_sel:DWORD
	v_mul_f16_sdwa v10, v71, v16 dst_sel:DWORD dst_unused:UNUSED_PAD src0_sel:WORD_1 src1_sel:DWORD
	v_fma_f16 v9, v71, v16, v9
	v_fma_f16 v4, v71, v4, -v10
	v_pack_b32_f16 v9, v9, v4
	s_waitcnt vmcnt(9)
	v_lshrrev_b32_e32 v4, 16, v17
	s_waitcnt vmcnt(8)
	v_mul_f16_sdwa v10, v70, v4 dst_sel:DWORD dst_unused:UNUSED_PAD src0_sel:WORD_1 src1_sel:DWORD
	v_mul_f16_sdwa v11, v70, v17 dst_sel:DWORD dst_unused:UNUSED_PAD src0_sel:WORD_1 src1_sel:DWORD
	v_fma_f16 v10, v70, v17, v10
	v_fma_f16 v4, v70, v4, -v11
	v_pack_b32_f16 v10, v10, v4
	s_waitcnt vmcnt(7)
	v_lshrrev_b32_e32 v4, 16, v8
	v_mul_f16_sdwa v11, v69, v4 dst_sel:DWORD dst_unused:UNUSED_PAD src0_sel:WORD_1 src1_sel:DWORD
	v_fma_f16 v11, v69, v8, v11
	v_mul_f16_sdwa v8, v69, v8 dst_sel:DWORD dst_unused:UNUSED_PAD src0_sel:WORD_1 src1_sel:DWORD
	v_fma_f16 v4, v69, v4, -v8
	v_pack_b32_f16 v4, v11, v4
	ds_write_b32 v64, v4 offset:1000
	s_waitcnt vmcnt(6)
	v_lshrrev_b32_e32 v4, 16, v14
	v_mul_f16_sdwa v8, v68, v4 dst_sel:DWORD dst_unused:UNUSED_PAD src0_sel:WORD_1 src1_sel:DWORD
	v_mul_f16_sdwa v11, v68, v14 dst_sel:DWORD dst_unused:UNUSED_PAD src0_sel:WORD_1 src1_sel:DWORD
	v_fma_f16 v8, v68, v14, v8
	v_fma_f16 v4, v68, v4, -v11
	v_pack_b32_f16 v8, v8, v4
	v_add_u32_e32 v4, 0x800, v64
	ds_write2_b32 v4, v6, v8 offset0:13 offset1:138
	s_waitcnt vmcnt(5)
	v_lshrrev_b32_e32 v6, 16, v15
	s_waitcnt vmcnt(2)
	v_mul_f16_sdwa v8, v67, v6 dst_sel:DWORD dst_unused:UNUSED_PAD src0_sel:WORD_1 src1_sel:DWORD
	v_mul_f16_sdwa v11, v67, v15 dst_sel:DWORD dst_unused:UNUSED_PAD src0_sel:WORD_1 src1_sel:DWORD
	v_fma_f16 v8, v67, v15, v8
	v_fma_f16 v6, v67, v6, -v11
	v_pack_b32_f16 v6, v8, v6
	v_add_u32_e32 v8, 0xe00, v64
	ds_write2_b32 v8, v7, v6 offset0:29 offset1:154
	s_waitcnt vmcnt(1)
	v_lshrrev_b32_e32 v6, 16, v18
	v_mul_f16_sdwa v7, v66, v6 dst_sel:DWORD dst_unused:UNUSED_PAD src0_sel:WORD_1 src1_sel:DWORD
	v_mul_f16_sdwa v8, v66, v18 dst_sel:DWORD dst_unused:UNUSED_PAD src0_sel:WORD_1 src1_sel:DWORD
	v_fma_f16 v7, v66, v18, v7
	v_fma_f16 v6, v66, v6, -v8
	v_pack_b32_f16 v7, v7, v6
	v_add_u32_e32 v6, 0x1400, v64
	ds_write2_b32 v6, v9, v7 offset0:45 offset1:170
	s_waitcnt vmcnt(0)
	v_lshrrev_b32_e32 v7, 16, v5
	v_mul_f16_sdwa v8, v65, v7 dst_sel:DWORD dst_unused:UNUSED_PAD src0_sel:WORD_1 src1_sel:DWORD
	v_fma_f16 v8, v65, v5, v8
	v_mul_f16_sdwa v5, v65, v5 dst_sel:DWORD dst_unused:UNUSED_PAD src0_sel:WORD_1 src1_sel:DWORD
	v_fma_f16 v5, v65, v7, -v5
	v_pack_b32_f16 v5, v8, v5
	v_add_u32_e32 v7, 0x1a00, v64
	ds_write2_b32 v7, v10, v5 offset0:61 offset1:186
	s_and_saveexec_b64 s[18:19], s[0:1]
	s_cbranch_execz .LBB0_3
; %bb.2:
	v_mov_b32_e32 v5, s17
	v_add_co_u32_e32 v2, vcc, s16, v2
	v_addc_co_u32_e32 v3, vcc, v3, v5, vcc
	global_load_dword v5, v[2:3], off
	global_load_dword v7, v[47:48], off offset:1500
	v_mov_b32_e32 v8, s15
	v_add_co_u32_e32 v2, vcc, s14, v2
	v_addc_co_u32_e32 v3, vcc, v3, v8, vcc
	global_load_dword v9, v[2:3], off
	global_load_dword v10, v[47:48], off offset:3100
	v_add_co_u32_e32 v2, vcc, s14, v2
	v_addc_co_u32_e32 v3, vcc, v3, v8, vcc
	global_load_dword v11, v[2:3], off
	global_load_dword v12, v[0:1], off offset:604
	;; [unrolled: 4-line block ×4, first 2 shown]
	s_waitcnt vmcnt(9)
	v_lshrrev_b32_e32 v0, 16, v5
	s_waitcnt vmcnt(8)
	v_mul_f16_sdwa v1, v7, v5 dst_sel:DWORD dst_unused:UNUSED_PAD src0_sel:WORD_1 src1_sel:DWORD
	v_mul_f16_sdwa v2, v7, v0 dst_sel:DWORD dst_unused:UNUSED_PAD src0_sel:WORD_1 src1_sel:DWORD
	v_fma_f16 v0, v7, v0, -v1
	v_fma_f16 v2, v7, v5, v2
	v_pack_b32_f16 v0, v2, v0
	s_waitcnt vmcnt(7)
	v_lshrrev_b32_e32 v1, 16, v9
	s_waitcnt vmcnt(6)
	v_mul_f16_sdwa v3, v10, v9 dst_sel:DWORD dst_unused:UNUSED_PAD src0_sel:WORD_1 src1_sel:DWORD
	v_mul_f16_sdwa v5, v10, v1 dst_sel:DWORD dst_unused:UNUSED_PAD src0_sel:WORD_1 src1_sel:DWORD
	v_fma_f16 v1, v10, v1, -v3
	v_fma_f16 v2, v10, v9, v5
	s_waitcnt vmcnt(5)
	v_lshrrev_b32_e32 v3, 16, v11
	s_waitcnt vmcnt(4)
	v_mul_f16_sdwa v7, v12, v11 dst_sel:DWORD dst_unused:UNUSED_PAD src0_sel:WORD_1 src1_sel:DWORD
	v_mul_f16_sdwa v5, v12, v3 dst_sel:DWORD dst_unused:UNUSED_PAD src0_sel:WORD_1 src1_sel:DWORD
	v_fma_f16 v3, v12, v3, -v7
	ds_write_b32 v64, v0 offset:1500
	s_waitcnt vmcnt(3)
	v_lshrrev_b32_e32 v7, 16, v13
	s_waitcnt vmcnt(2)
	v_mul_f16_sdwa v9, v14, v13 dst_sel:DWORD dst_unused:UNUSED_PAD src0_sel:WORD_1 src1_sel:DWORD
	v_pack_b32_f16 v0, v2, v1
	v_fma_f16 v1, v12, v11, v5
	v_mul_f16_sdwa v2, v14, v7 dst_sel:DWORD dst_unused:UNUSED_PAD src0_sel:WORD_1 src1_sel:DWORD
	v_fma_f16 v5, v14, v7, -v9
	s_waitcnt vmcnt(1)
	v_lshrrev_b32_e32 v7, 16, v8
	s_waitcnt vmcnt(0)
	v_mul_f16_sdwa v9, v15, v8 dst_sel:DWORD dst_unused:UNUSED_PAD src0_sel:WORD_1 src1_sel:DWORD
	ds_write_b32 v64, v0 offset:3100
	v_pack_b32_f16 v0, v1, v3
	v_fma_f16 v1, v14, v13, v2
	v_mul_f16_sdwa v2, v15, v7 dst_sel:DWORD dst_unused:UNUSED_PAD src0_sel:WORD_1 src1_sel:DWORD
	v_fma_f16 v3, v15, v7, -v9
	ds_write_b32 v64, v0 offset:4700
	v_pack_b32_f16 v0, v1, v5
	v_fma_f16 v1, v15, v8, v2
	ds_write_b32 v64, v0 offset:6300
	v_pack_b32_f16 v0, v1, v3
	ds_write_b32 v64, v0 offset:7900
.LBB0_3:
	s_or_b64 exec, exec, s[18:19]
	v_add_u32_e32 v2, 0xc00, v64
	s_waitcnt lgkmcnt(0)
	s_barrier
	v_add_u32_e32 v0, 0x300, v64
	ds_read2_b32 v[10:11], v2 offset0:32 offset1:157
	v_add_u32_e32 v2, 0x1000, v64
	v_add_u32_e32 v5, 0x1800, v64
	ds_read2_b32 v[8:9], v64 offset1:125
	ds_read2_b32 v[0:1], v0 offset0:58 offset1:208
	ds_read2_b32 v[2:3], v2 offset0:26 offset1:176
	ds_read2_b32 v[12:13], v5 offset0:64 offset1:189
	ds_read2_b32 v[4:5], v4 offset0:13 offset1:138
	ds_read2_b32 v[6:7], v6 offset0:45 offset1:170
	ds_read_b32 v14, v64 offset:7400
                                        ; implicit-def: $vgpr16
                                        ; implicit-def: $vgpr17
                                        ; implicit-def: $vgpr18
                                        ; implicit-def: $vgpr19
                                        ; implicit-def: $vgpr15
	s_and_saveexec_b64 s[14:15], s[0:1]
	s_cbranch_execz .LBB0_5
; %bb.4:
	ds_read_b32 v15, v64 offset:1500
	ds_read_b32 v17, v64 offset:3100
	;; [unrolled: 1-line block ×5, first 2 shown]
.LBB0_5:
	s_or_b64 exec, exec, s[14:15]
	s_waitcnt lgkmcnt(3)
	v_pk_add_f16 v28, v17, v15
	s_waitcnt lgkmcnt(2)
	v_pk_add_f16 v28, v16, v28
	;; [unrolled: 2-line block ×3, first 2 shown]
	s_waitcnt lgkmcnt(0)
	v_pk_add_f16 v23, v17, v19 neg_lo:[0,1] neg_hi:[0,1]
	v_pk_add_f16 v32, v19, v28
	v_pk_add_f16 v28, v16, v18
	s_movk_i32 s14, 0x3b9c
	v_pk_add_f16 v24, v16, v18 neg_lo:[0,1] neg_hi:[0,1]
	v_pk_add_f16 v25, v17, v19
	v_pk_add_f16 v26, v16, v17 neg_lo:[0,1] neg_hi:[0,1]
	v_pk_fma_f16 v28, v28, 0.5, v15 op_sel_hi:[1,0,1] neg_lo:[1,0,0] neg_hi:[1,0,0]
	v_pk_mul_f16 v29, v23, s14 op_sel_hi:[1,0]
	s_movk_i32 s15, 0x38b4
	v_pk_add_f16 v16, v17, v16 neg_lo:[0,1] neg_hi:[0,1]
	v_pk_add_f16 v17, v19, v18 neg_lo:[0,1] neg_hi:[0,1]
	;; [unrolled: 1-line block ×3, first 2 shown]
	v_pk_mul_f16 v33, v24, s15 op_sel_hi:[1,0]
	v_pk_add_f16 v16, v16, v17
	v_pk_add_f16 v17, v28, v29 op_sel:[0,1] op_sel_hi:[1,0] neg_lo:[0,1] neg_hi:[0,1]
	v_pk_add_f16 v18, v28, v29 op_sel:[0,1] op_sel_hi:[1,0]
	v_pk_add_f16 v17, v17, v33 op_sel:[0,1] op_sel_hi:[1,0] neg_lo:[0,1] neg_hi:[0,1]
	s_mov_b32 s12, 0xffff
	v_pk_add_f16 v18, v18, v33 op_sel:[0,1] op_sel_hi:[1,0]
	v_bfi_b32 v19, s12, v17, v18
	v_bfi_b32 v17, s12, v18, v17
	s_movk_i32 s16, 0x34f2
	v_pk_fma_f16 v34, v16, s16, v17 op_sel_hi:[1,0,1]
	v_pk_fma_f16 v33, v16, s16, v19 op_sel_hi:[1,0,1]
	v_pk_fma_f16 v15, v25, 0.5, v15 op_sel_hi:[1,0,1] neg_lo:[1,0,0] neg_hi:[1,0,0]
	v_pk_mul_f16 v16, v24, s14 op_sel_hi:[1,0]
	v_pk_add_f16 v17, v15, v16 op_sel:[0,1] op_sel_hi:[1,0] neg_lo:[0,1] neg_hi:[0,1]
	v_pk_mul_f16 v18, v23, s15 op_sel_hi:[1,0]
	v_pk_add_f16 v17, v18, v17 op_sel:[1,0] op_sel_hi:[0,1]
	v_pk_add_f16 v19, v26, v27
	v_pk_add_f16 v15, v16, v15 op_sel:[1,0] op_sel_hi:[0,1]
	v_pk_fma_f16 v35, v19, s16, v17 op_sel_hi:[1,0,1]
	v_pk_add_f16 v15, v15, v18 op_sel:[0,1] op_sel_hi:[1,0] neg_lo:[0,1] neg_hi:[0,1]
	v_pk_add_f16 v16, v10, v3
	v_pk_add_f16 v17, v1, v12 neg_lo:[0,1] neg_hi:[0,1]
	v_pk_add_f16 v20, v8, v1
	v_pk_fma_f16 v37, v19, s16, v15 op_sel_hi:[1,0,1]
	v_mul_lo_u16_e32 v15, 5, v78
	v_pk_fma_f16 v16, v16, 0.5, v8 op_sel_hi:[1,0,1] neg_lo:[1,0,0] neg_hi:[1,0,0]
	v_pk_mul_f16 v18, v17, s14 op_sel_hi:[1,0]
	v_pk_add_f16 v19, v10, v3 neg_lo:[0,1] neg_hi:[0,1]
	v_pk_add_f16 v23, v1, v10 neg_lo:[0,1] neg_hi:[0,1]
	v_pk_add_f16 v24, v12, v3 neg_lo:[0,1] neg_hi:[0,1]
	v_lshlrev_b32_e32 v81, 2, v15
	v_pk_add_f16 v15, v20, v10
	v_pk_mul_f16 v20, v19, s15 op_sel_hi:[1,0]
	v_pk_add_f16 v23, v23, v24
	v_pk_add_f16 v24, v16, v18 op_sel:[0,1] op_sel_hi:[1,0]
	v_pk_add_f16 v16, v16, v18 op_sel:[0,1] op_sel_hi:[1,0] neg_lo:[0,1] neg_hi:[0,1]
	v_pk_add_f16 v18, v24, v20 op_sel:[0,1] op_sel_hi:[1,0]
	v_pk_add_f16 v16, v16, v20 op_sel:[0,1] op_sel_hi:[1,0] neg_lo:[0,1] neg_hi:[0,1]
	v_pk_add_f16 v15, v15, v3
	v_bfi_b32 v20, s12, v18, v16
	v_pk_add_f16 v15, v15, v12
	v_pk_fma_f16 v20, v23, s16, v20 op_sel_hi:[1,0,1]
	s_barrier
	ds_write2_b32 v81, v15, v20 offset1:1
	v_pk_add_f16 v15, v1, v12
	v_pk_add_f16 v1, v10, v1 neg_lo:[0,1] neg_hi:[0,1]
	v_pk_add_f16 v3, v3, v12 neg_lo:[0,1] neg_hi:[0,1]
	v_pk_fma_f16 v8, v15, 0.5, v8 op_sel_hi:[1,0,1] neg_lo:[1,0,0] neg_hi:[1,0,0]
	v_pk_add_f16 v1, v1, v3
	v_pk_mul_f16 v3, v19, s14 op_sel_hi:[1,0]
	v_pk_mul_f16 v10, v17, s15 op_sel_hi:[1,0]
	v_pk_add_f16 v12, v8, v3 op_sel:[0,1] op_sel_hi:[1,0] neg_lo:[0,1] neg_hi:[0,1]
	v_pk_add_f16 v3, v8, v3 op_sel:[0,1] op_sel_hi:[1,0]
	v_pk_add_f16 v8, v12, v10 op_sel:[0,1] op_sel_hi:[1,0]
	v_pk_add_f16 v3, v3, v10 op_sel:[0,1] op_sel_hi:[1,0] neg_lo:[0,1] neg_hi:[0,1]
	v_bfi_b32 v10, s12, v8, v3
	v_bfi_b32 v3, s12, v3, v8
	v_pk_fma_f16 v10, v1, s16, v10 op_sel_hi:[1,0,1]
	v_pk_fma_f16 v1, v1, s16, v3 op_sel_hi:[1,0,1]
	ds_write2_b32 v81, v10, v1 offset0:2 offset1:3
	v_bfi_b32 v1, s12, v16, v18
	v_pk_add_f16 v3, v11, v6
	v_pk_add_f16 v8, v4, v13 neg_lo:[0,1] neg_hi:[0,1]
	v_add_co_u32_e32 v31, vcc, 0x7d, v78
	v_pk_fma_f16 v1, v23, s16, v1 op_sel_hi:[1,0,1]
	v_pk_fma_f16 v3, v3, 0.5, v9 op_sel_hi:[1,0,1] neg_lo:[1,0,0] neg_hi:[1,0,0]
	v_pk_mul_f16 v10, v8, s14 op_sel_hi:[1,0]
	v_pk_add_f16 v12, v11, v6 neg_lo:[0,1] neg_hi:[0,1]
	v_pk_add_f16 v16, v4, v11 neg_lo:[0,1] neg_hi:[0,1]
	v_pk_add_f16 v17, v13, v6 neg_lo:[0,1] neg_hi:[0,1]
	v_pk_add_f16 v21, v9, v4
	ds_write_b32 v81, v1 offset:16
	v_mul_u32_u24_e32 v1, 5, v31
	v_pk_mul_f16 v15, v12, s15 op_sel_hi:[1,0]
	v_pk_add_f16 v16, v16, v17
	v_pk_add_f16 v17, v3, v10 op_sel:[0,1] op_sel_hi:[1,0]
	v_pk_add_f16 v3, v3, v10 op_sel:[0,1] op_sel_hi:[1,0] neg_lo:[0,1] neg_hi:[0,1]
	v_lshlrev_b32_e32 v82, 2, v1
	v_pk_add_f16 v1, v21, v11
	v_pk_add_f16 v10, v17, v15 op_sel:[0,1] op_sel_hi:[1,0]
	v_pk_add_f16 v3, v3, v15 op_sel:[0,1] op_sel_hi:[1,0] neg_lo:[0,1] neg_hi:[0,1]
	v_pk_add_f16 v1, v1, v6
	v_bfi_b32 v15, s12, v10, v3
	v_pk_add_f16 v1, v1, v13
	v_pk_fma_f16 v15, v16, s16, v15 op_sel_hi:[1,0,1]
	ds_write2_b32 v82, v1, v15 offset1:1
	v_pk_add_f16 v1, v4, v13
	v_pk_add_f16 v4, v11, v4 neg_lo:[0,1] neg_hi:[0,1]
	v_pk_add_f16 v6, v6, v13 neg_lo:[0,1] neg_hi:[0,1]
	v_pk_fma_f16 v1, v1, 0.5, v9 op_sel_hi:[1,0,1] neg_lo:[1,0,0] neg_hi:[1,0,0]
	v_pk_add_f16 v4, v4, v6
	v_pk_mul_f16 v6, v12, s14 op_sel_hi:[1,0]
	v_pk_mul_f16 v8, v8, s15 op_sel_hi:[1,0]
	v_pk_add_f16 v9, v1, v6 op_sel:[0,1] op_sel_hi:[1,0] neg_lo:[0,1] neg_hi:[0,1]
	v_pk_add_f16 v1, v1, v6 op_sel:[0,1] op_sel_hi:[1,0]
	v_pk_add_f16 v6, v9, v8 op_sel:[0,1] op_sel_hi:[1,0]
	v_pk_add_f16 v1, v1, v8 op_sel:[0,1] op_sel_hi:[1,0] neg_lo:[0,1] neg_hi:[0,1]
	v_bfi_b32 v8, s12, v6, v1
	v_bfi_b32 v1, s12, v1, v6
	v_pk_fma_f16 v8, v4, s16, v8 op_sel_hi:[1,0,1]
	v_pk_fma_f16 v1, v4, s16, v1 op_sel_hi:[1,0,1]
	ds_write2_b32 v82, v8, v1 offset0:2 offset1:3
	v_bfi_b32 v1, s12, v3, v10
	v_pk_add_f16 v3, v2, v7
	v_pk_add_f16 v4, v5, v14 neg_lo:[0,1] neg_hi:[0,1]
	v_add_co_u32_e32 v30, vcc, 0xfa, v78
	v_pk_fma_f16 v1, v16, s16, v1 op_sel_hi:[1,0,1]
	v_pk_fma_f16 v3, v3, 0.5, v0 op_sel_hi:[1,0,1] neg_lo:[1,0,0] neg_hi:[1,0,0]
	v_pk_mul_f16 v6, v4, s14 op_sel_hi:[1,0]
	v_pk_add_f16 v8, v2, v7 neg_lo:[0,1] neg_hi:[0,1]
	v_pk_add_f16 v10, v5, v2 neg_lo:[0,1] neg_hi:[0,1]
	;; [unrolled: 1-line block ×3, first 2 shown]
	v_pk_add_f16 v22, v0, v5
	ds_write_b32 v82, v1 offset:16
	v_mul_u32_u24_e32 v1, 5, v30
	v_pk_mul_f16 v9, v8, s15 op_sel_hi:[1,0]
	v_pk_add_f16 v10, v10, v11
	v_pk_add_f16 v11, v3, v6 op_sel:[0,1] op_sel_hi:[1,0]
	v_pk_add_f16 v3, v3, v6 op_sel:[0,1] op_sel_hi:[1,0] neg_lo:[0,1] neg_hi:[0,1]
	v_lshlrev_b32_e32 v83, 2, v1
	v_pk_add_f16 v1, v22, v2
	v_pk_add_f16 v6, v11, v9 op_sel:[0,1] op_sel_hi:[1,0]
	v_pk_add_f16 v3, v3, v9 op_sel:[0,1] op_sel_hi:[1,0] neg_lo:[0,1] neg_hi:[0,1]
	v_pk_add_f16 v1, v1, v7
	v_bfi_b32 v9, s12, v6, v3
	v_pk_add_f16 v1, v1, v14
	v_pk_fma_f16 v9, v10, s16, v9 op_sel_hi:[1,0,1]
	ds_write2_b32 v83, v1, v9 offset1:1
	v_pk_add_f16 v1, v5, v14
	v_pk_fma_f16 v0, v1, 0.5, v0 op_sel_hi:[1,0,1] neg_lo:[1,0,0] neg_hi:[1,0,0]
	v_pk_add_f16 v1, v2, v5 neg_lo:[0,1] neg_hi:[0,1]
	v_pk_add_f16 v2, v7, v14 neg_lo:[0,1] neg_hi:[0,1]
	v_pk_add_f16 v1, v1, v2
	v_pk_mul_f16 v2, v8, s14 op_sel_hi:[1,0]
	v_pk_mul_f16 v4, v4, s15 op_sel_hi:[1,0]
	v_pk_add_f16 v5, v0, v2 op_sel:[0,1] op_sel_hi:[1,0] neg_lo:[0,1] neg_hi:[0,1]
	v_pk_add_f16 v0, v0, v2 op_sel:[0,1] op_sel_hi:[1,0]
	s_load_dwordx2 s[4:5], s[4:5], 0x8
	v_pk_add_f16 v2, v5, v4 op_sel:[0,1] op_sel_hi:[1,0]
	v_pk_add_f16 v0, v0, v4 op_sel:[0,1] op_sel_hi:[1,0] neg_lo:[0,1] neg_hi:[0,1]
	v_bfi_b32 v4, s12, v2, v0
	v_bfi_b32 v0, s12, v0, v2
	v_pk_fma_f16 v4, v1, s16, v4 op_sel_hi:[1,0,1]
	v_pk_fma_f16 v0, v1, s16, v0 op_sel_hi:[1,0,1]
	v_add_co_u32_e32 v46, vcc, 0x177, v78
	ds_write2_b32 v83, v4, v0 offset0:2 offset1:3
	v_bfi_b32 v0, s12, v3, v6
	v_lshrrev_b32_e32 v36, 16, v35
	v_pk_fma_f16 v0, v10, s16, v0 op_sel_hi:[1,0,1]
	v_mul_u32_u24_e32 v84, 5, v46
	ds_write_b32 v83, v0 offset:16
	s_and_saveexec_b64 s[14:15], s[0:1]
	s_cbranch_execz .LBB0_7
; %bb.6:
	v_bfi_b32 v1, s12, v35, v37
	s_mov_b32 s12, 0x5040100
	v_lshlrev_b32_e32 v0, 2, v84
	v_perm_b32 v2, v36, v37, s12
	ds_write2_b32 v0, v32, v34 offset1:1
	ds_write2_b32 v0, v1, v2 offset0:2 offset1:3
	ds_write_b32 v0, v33 offset:16
.LBB0_7:
	s_or_b64 exec, exec, s[14:15]
	v_add_u32_e32 v0, 0x300, v64
	s_waitcnt lgkmcnt(0)
	s_barrier
	ds_read2_b32 v[4:5], v0 offset0:58 offset1:208
	v_add_u32_e32 v0, 0xc00, v64
	ds_read2_b32 v[28:29], v0 offset0:32 offset1:157
	v_add_u32_e32 v0, 0x1000, v64
	;; [unrolled: 2-line block ×5, first 2 shown]
	ds_read2_b32 v[6:7], v64 offset1:125
	ds_read2_b32 v[22:23], v0 offset0:45 offset1:170
	ds_read_b32 v39, v64 offset:7400
	v_lshrrev_b32_e32 v40, 16, v34
	s_and_saveexec_b64 s[14:15], s[0:1]
	s_cbranch_execz .LBB0_9
; %bb.8:
	ds_read_b32 v34, v64 offset:3100
	ds_read_b32 v0, v64 offset:6300
	;; [unrolled: 1-line block ×5, first 2 shown]
	s_mov_b32 s12, 0xffff
	s_waitcnt lgkmcnt(4)
	v_lshrrev_b32_e32 v40, 16, v34
	s_waitcnt lgkmcnt(3)
	v_lshrrev_b32_e32 v36, 16, v0
	s_waitcnt lgkmcnt(1)
	v_bfi_b32 v37, s12, v0, v35
.LBB0_9:
	s_or_b64 exec, exec, s[14:15]
	s_movk_i32 s12, 0xcd
	v_mul_lo_u16_sdwa v0, v78, s12 dst_sel:DWORD dst_unused:UNUSED_PAD src0_sel:BYTE_0 src1_sel:DWORD
	v_lshrrev_b16_e32 v16, 10, v0
	v_mul_lo_u16_e32 v0, 5, v16
	v_mul_lo_u16_sdwa v8, v31, s12 dst_sel:DWORD dst_unused:UNUSED_PAD src0_sel:BYTE_0 src1_sel:DWORD
	v_sub_u16_e32 v0, v78, v0
	v_lshrrev_b16_e32 v38, 10, v8
	v_and_b32_e32 v17, 0xff, v0
	v_mul_lo_u16_e32 v8, 5, v38
	v_lshlrev_b32_e32 v0, 4, v17
	v_sub_u16_e32 v8, v31, v8
	global_load_dwordx4 v[0:3], v0, s[4:5]
	v_and_b32_e32 v41, 0xff, v8
	v_lshlrev_b32_e32 v8, 4, v41
	global_load_dwordx4 v[8:11], v8, s[4:5]
	s_mov_b32 s18, 0xcccd
	v_mul_u32_u24_sdwa v12, v30, s18 dst_sel:DWORD dst_unused:UNUSED_PAD src0_sel:WORD_0 src1_sel:DWORD
	v_lshrrev_b32_e32 v60, 18, v12
	v_mul_lo_u16_e32 v12, 5, v60
	v_sub_u16_e32 v61, v30, v12
	v_lshlrev_b16_e32 v12, 2, v61
	v_lshlrev_b32_e32 v12, 2, v12
	global_load_dwordx4 v[12:15], v12, s[4:5]
	v_mul_u32_u24_sdwa v18, v46, s18 dst_sel:DWORD dst_unused:UNUSED_PAD src0_sel:WORD_0 src1_sel:DWORD
	v_lshrrev_b32_e32 v62, 18, v18
	v_mul_lo_u16_e32 v18, 5, v62
	v_sub_u16_e32 v63, v46, v18
	v_mul_u32_u24_e32 v16, 25, v16
	v_lshlrev_b16_e32 v18, 2, v63
	v_add_lshl_u32 v85, v16, v17, 2
	v_lshlrev_b32_e32 v16, 2, v18
	global_load_dwordx4 v[16:19], v16, s[4:5]
	s_waitcnt lgkmcnt(7)
	v_lshrrev_b32_e32 v43, 16, v5
	s_waitcnt lgkmcnt(6)
	v_lshrrev_b32_e32 v44, 16, v28
	;; [unrolled: 2-line block ×5, first 2 shown]
	v_lshrrev_b32_e32 v51, 16, v29
	s_movk_i32 s12, 0x3b9c
	s_mov_b32 s16, 0xbb9c
	s_movk_i32 s15, 0x38b4
	s_mov_b32 s17, 0xb8b4
	s_movk_i32 s14, 0x34f2
	s_waitcnt vmcnt(0) lgkmcnt(0)
	s_barrier
	v_mul_f16_sdwa v52, v43, v0 dst_sel:DWORD dst_unused:UNUSED_PAD src0_sel:DWORD src1_sel:WORD_1
	v_mul_f16_sdwa v53, v5, v0 dst_sel:DWORD dst_unused:UNUSED_PAD src0_sel:DWORD src1_sel:WORD_1
	;; [unrolled: 1-line block ×8, first 2 shown]
	v_fma_f16 v5, v5, v0, -v52
	v_fma_f16 v43, v43, v0, v53
	v_fma_f16 v28, v28, v1, -v54
	v_fma_f16 v44, v44, v1, v55
	;; [unrolled: 2-line block ×3, first 2 shown]
	v_fma_f16 v26, v26, v3, -v58
	v_mul_f16_sdwa v86, v51, v9 dst_sel:DWORD dst_unused:UNUSED_PAD src0_sel:DWORD src1_sel:WORD_1
	v_fma_f16 v50, v50, v3, v59
	v_add_f16_e32 v52, v6, v5
	v_add_f16_e32 v53, v28, v21
	v_sub_f16_e32 v56, v5, v28
	v_sub_f16_e32 v57, v26, v21
	v_add_f16_e32 v58, v42, v43
	v_add_f16_e32 v59, v44, v45
	v_mul_f16_sdwa v87, v29, v9 dst_sel:DWORD dst_unused:UNUSED_PAD src0_sel:DWORD src1_sel:WORD_1
	v_fma_f16 v29, v29, v9, -v86
	v_sub_f16_e32 v54, v43, v50
	v_sub_f16_e32 v86, v5, v26
	;; [unrolled: 1-line block ×4, first 2 shown]
	v_add_f16_e32 v56, v56, v57
	v_add_f16_e32 v52, v52, v28
	v_fma_f16 v53, v53, -0.5, v6
	v_add_f16_e32 v57, v58, v44
	v_fma_f16 v58, v59, -0.5, v42
	v_sub_f16_e32 v55, v44, v45
	v_sub_f16_e32 v88, v28, v21
	v_add_f16_e32 v59, v89, v90
	v_add_f16_e32 v52, v52, v21
	v_fma_f16 v89, v54, s12, v53
	v_add_f16_e32 v57, v57, v45
	v_fma_f16 v90, v86, s16, v58
	v_add_f16_e32 v52, v52, v26
	v_add_f16_e32 v57, v57, v50
	v_fma_f16 v89, v55, s15, v89
	v_fma_f16 v90, v88, s17, v90
	v_pack_b32_f16 v52, v52, v57
	v_fma_f16 v57, v56, s14, v89
	v_fma_f16 v89, v59, s14, v90
	v_pack_b32_f16 v57, v57, v89
	ds_write2_b32 v85, v52, v57 offset1:5
	v_lshrrev_b32_e32 v52, 16, v27
	v_mul_f16_sdwa v57, v52, v11 dst_sel:DWORD dst_unused:UNUSED_PAD src0_sel:DWORD src1_sel:WORD_1
	v_fma_f16 v57, v27, v11, -v57
	v_mul_f16_sdwa v27, v27, v11 dst_sel:DWORD dst_unused:UNUSED_PAD src0_sel:DWORD src1_sel:WORD_1
	v_fma_f16 v51, v51, v9, v87
	v_fma_f16 v27, v52, v11, v27
	v_lshrrev_b32_e32 v52, 16, v24
	v_mul_f16_sdwa v87, v24, v8 dst_sel:DWORD dst_unused:UNUSED_PAD src0_sel:DWORD src1_sel:WORD_1
	v_fma_f16 v87, v52, v8, v87
	v_mul_f16_sdwa v52, v52, v8 dst_sel:DWORD dst_unused:UNUSED_PAD src0_sel:DWORD src1_sel:WORD_1
	v_fma_f16 v24, v24, v8, -v52
	v_lshrrev_b32_e32 v52, 16, v25
	v_mul_f16_sdwa v89, v52, v12 dst_sel:DWORD dst_unused:UNUSED_PAD src0_sel:DWORD src1_sel:WORD_1
	v_fma_f16 v89, v25, v12, -v89
	v_mul_f16_sdwa v25, v25, v12 dst_sel:DWORD dst_unused:UNUSED_PAD src0_sel:DWORD src1_sel:WORD_1
	v_fma_f16 v25, v52, v12, v25
	v_lshrrev_b32_e32 v52, 16, v20
	v_mul_f16_sdwa v90, v52, v13 dst_sel:DWORD dst_unused:UNUSED_PAD src0_sel:DWORD src1_sel:WORD_1
	v_fma_f16 v90, v20, v13, -v90
	v_mul_f16_sdwa v20, v20, v13 dst_sel:DWORD dst_unused:UNUSED_PAD src0_sel:DWORD src1_sel:WORD_1
	v_fma_f16 v20, v52, v13, v20
	v_lshrrev_b32_e32 v52, 16, v22
	v_mul_f16_sdwa v91, v22, v10 dst_sel:DWORD dst_unused:UNUSED_PAD src0_sel:DWORD src1_sel:WORD_1
	v_fma_f16 v91, v52, v10, v91
	v_mul_f16_sdwa v52, v52, v10 dst_sel:DWORD dst_unused:UNUSED_PAD src0_sel:DWORD src1_sel:WORD_1
	v_fma_f16 v22, v22, v10, -v52
	v_lshrrev_b32_e32 v52, 16, v23
	v_mul_f16_sdwa v92, v52, v14 dst_sel:DWORD dst_unused:UNUSED_PAD src0_sel:DWORD src1_sel:WORD_1
	v_fma_f16 v92, v23, v14, -v92
	v_mul_f16_sdwa v23, v23, v14 dst_sel:DWORD dst_unused:UNUSED_PAD src0_sel:DWORD src1_sel:WORD_1
	v_fma_f16 v23, v52, v14, v23
	v_lshrrev_b32_e32 v52, 16, v39
	v_mul_f16_sdwa v93, v52, v15 dst_sel:DWORD dst_unused:UNUSED_PAD src0_sel:DWORD src1_sel:WORD_1
	v_fma_f16 v93, v39, v15, -v93
	v_mul_f16_sdwa v39, v39, v15 dst_sel:DWORD dst_unused:UNUSED_PAD src0_sel:DWORD src1_sel:WORD_1
	v_fma_f16 v39, v52, v15, v39
	v_mul_f16_sdwa v52, v40, v16 dst_sel:DWORD dst_unused:UNUSED_PAD src0_sel:DWORD src1_sel:WORD_1
	v_fma_f16 v94, v34, v16, -v52
	v_mul_f16_sdwa v34, v34, v16 dst_sel:DWORD dst_unused:UNUSED_PAD src0_sel:DWORD src1_sel:WORD_1
	v_fma_f16 v34, v40, v16, v34
	v_lshrrev_b32_e32 v40, 16, v37
	v_mul_f16_sdwa v52, v40, v17 dst_sel:DWORD dst_unused:UNUSED_PAD src0_sel:DWORD src1_sel:WORD_1
	v_fma_f16 v95, v35, v17, -v52
	v_mul_f16_sdwa v35, v35, v17 dst_sel:DWORD dst_unused:UNUSED_PAD src0_sel:DWORD src1_sel:WORD_1
	v_sub_f16_e32 v28, v28, v5
	v_add_f16_e32 v5, v5, v26
	v_sub_f16_e32 v21, v21, v26
	v_add_f16_e32 v26, v43, v50
	v_fma_f16 v35, v40, v17, v35
	v_mul_f16_sdwa v40, v36, v18 dst_sel:DWORD dst_unused:UNUSED_PAD src0_sel:DWORD src1_sel:WORD_1
	v_add_f16_e32 v21, v28, v21
	v_fma_f16 v26, v26, -0.5, v42
	v_sub_f16_e32 v28, v44, v43
	v_sub_f16_e32 v42, v45, v50
	v_fma_f16 v40, v37, v18, -v40
	v_mul_f16_sdwa v37, v37, v18 dst_sel:DWORD dst_unused:UNUSED_PAD src0_sel:DWORD src1_sel:WORD_1
	v_add_f16_e32 v28, v28, v42
	v_fma_f16 v42, v88, s12, v26
	v_fma_f16 v26, v88, s16, v26
	;; [unrolled: 1-line block ×3, first 2 shown]
	v_lshrrev_b32_e32 v37, 16, v33
	v_fma_f16 v42, v86, s17, v42
	v_fma_f16 v26, v86, s15, v26
	v_mul_f16_sdwa v52, v37, v19 dst_sel:DWORD dst_unused:UNUSED_PAD src0_sel:DWORD src1_sel:WORD_1
	v_fma_f16 v5, v5, -0.5, v6
	v_fma_f16 v42, v28, s14, v42
	v_fma_f16 v26, v28, s14, v26
	v_add_f16_e32 v28, v29, v22
	v_sub_f16_e32 v45, v24, v29
	v_sub_f16_e32 v50, v57, v22
	v_fma_f16 v96, v33, v19, -v52
	v_mul_f16_sdwa v33, v33, v19 dst_sel:DWORD dst_unused:UNUSED_PAD src0_sel:DWORD src1_sel:WORD_1
	v_fma_f16 v6, v55, s16, v5
	v_fma_f16 v5, v55, s12, v5
	v_fma_f16 v28, v28, -0.5, v7
	v_add_f16_e32 v45, v45, v50
	v_sub_f16_e32 v50, v87, v27
	v_fma_f16 v33, v37, v19, v33
	v_fma_f16 v37, v54, s16, v53
	;; [unrolled: 1-line block ×5, first 2 shown]
	v_sub_f16_e32 v53, v51, v91
	v_fma_f16 v28, v50, s16, v28
	v_fma_f16 v6, v21, s14, v6
	;; [unrolled: 1-line block ×4, first 2 shown]
	v_add_f16_e32 v43, v24, v57
	v_fma_f16 v52, v53, s15, v52
	v_fma_f16 v28, v53, s17, v28
	;; [unrolled: 1-line block ×3, first 2 shown]
	v_fma_f16 v43, v43, -0.5, v7
	v_fma_f16 v88, v45, s14, v52
	v_fma_f16 v28, v45, s14, v28
	v_sub_f16_e32 v45, v29, v24
	v_sub_f16_e32 v52, v22, v57
	v_lshrrev_b32_e32 v44, 16, v7
	v_add_f16_e32 v7, v7, v24
	v_add_f16_e32 v45, v45, v52
	v_fma_f16 v52, v53, s16, v43
	v_fma_f16 v43, v53, s12, v43
	;; [unrolled: 1-line block ×4, first 2 shown]
	v_add_f16_e32 v7, v7, v29
	v_fma_f16 v97, v45, s14, v52
	v_fma_f16 v43, v45, s14, v43
	v_add_f16_e32 v7, v7, v22
	v_sub_f16_e32 v22, v29, v22
	v_sub_f16_e32 v29, v87, v51
	;; [unrolled: 1-line block ×3, first 2 shown]
	v_add_f16_e32 v29, v29, v45
	v_add_f16_e32 v45, v51, v91
	v_sub_f16_e32 v24, v24, v57
	v_fma_f16 v45, v45, -0.5, v44
	v_fma_f16 v50, v24, s16, v45
	v_fma_f16 v45, v24, s12, v45
	;; [unrolled: 1-line block ×6, first 2 shown]
	v_add_f16_e32 v45, v87, v27
	v_fma_f16 v45, v45, -0.5, v44
	v_add_f16_e32 v44, v44, v87
	v_add_f16_e32 v44, v44, v51
	;; [unrolled: 1-line block ×3, first 2 shown]
	v_sub_f16_e32 v50, v51, v87
	v_add_f16_e32 v44, v44, v27
	v_sub_f16_e32 v27, v91, v27
	v_add_f16_e32 v27, v50, v27
	v_fma_f16 v50, v22, s12, v45
	v_fma_f16 v22, v22, s16, v45
	v_fma_f16 v45, v24, s17, v50
	v_fma_f16 v22, v24, s15, v22
	v_fma_f16 v24, v27, s14, v45
	v_fma_f16 v22, v27, s14, v22
	v_add_f16_e32 v27, v90, v92
	v_sub_f16_e32 v51, v89, v90
	v_sub_f16_e32 v52, v93, v92
	v_fma_f16 v27, v27, -0.5, v4
	v_add_f16_e32 v51, v51, v52
	v_sub_f16_e32 v52, v25, v39
	v_fma_f16 v53, v52, s12, v27
	v_sub_f16_e32 v54, v20, v23
	v_fma_f16 v27, v52, s16, v27
	v_add_f16_e32 v45, v89, v93
	v_fma_f16 v53, v54, s15, v53
	v_fma_f16 v27, v54, s17, v27
	v_fma_f16 v45, v45, -0.5, v4
	v_fma_f16 v91, v51, s14, v53
	v_fma_f16 v27, v51, s14, v27
	v_sub_f16_e32 v51, v90, v89
	v_sub_f16_e32 v53, v92, v93
	v_add_f16_e32 v51, v51, v53
	v_fma_f16 v53, v54, s16, v45
	v_fma_f16 v53, v52, s15, v53
	;; [unrolled: 1-line block ×4, first 2 shown]
	v_sub_f16_e32 v53, v25, v20
	v_sub_f16_e32 v54, v39, v23
	v_lshrrev_b32_e32 v50, 16, v4
	v_fma_f16 v45, v52, s17, v45
	v_add_f16_e32 v53, v53, v54
	v_add_f16_e32 v54, v20, v23
	v_fma_f16 v45, v51, s14, v45
	v_sub_f16_e32 v51, v89, v93
	v_fma_f16 v54, v54, -0.5, v50
	v_fma_f16 v37, v55, s17, v37
	v_sub_f16_e32 v52, v90, v92
	v_fma_f16 v55, v51, s16, v54
	v_fma_f16 v54, v51, s12, v54
	v_add_f16_e32 v4, v4, v89
	v_fma_f16 v55, v52, s17, v55
	v_fma_f16 v54, v52, s15, v54
	v_add_f16_e32 v4, v4, v90
	;; [unrolled: 3-line block ×3, first 2 shown]
	v_fma_f16 v53, v53, -0.5, v50
	v_add_f16_e32 v50, v50, v25
	v_add_f16_e32 v50, v50, v20
	v_pack_b32_f16 v6, v6, v42
	v_pack_b32_f16 v5, v5, v26
	v_sub_f16_e32 v20, v20, v25
	v_add_f16_e32 v25, v50, v23
	v_sub_f16_e32 v23, v23, v39
	ds_write2_b32 v85, v6, v5 offset0:10 offset1:15
	v_sub_f16_e32 v5, v94, v95
	v_sub_f16_e32 v6, v96, v40
	v_add_f16_e32 v25, v25, v39
	v_add_f16_e32 v20, v20, v23
	v_fma_f16 v23, v52, s12, v53
	v_fma_f16 v39, v52, s16, v53
	v_add_f16_e32 v5, v5, v6
	v_add_f16_e32 v6, v95, v40
	v_fma_f16 v23, v51, s17, v23
	v_fma_f16 v39, v51, s15, v39
	v_fma_f16 v6, v6, -0.5, v32
	v_sub_f16_e32 v26, v34, v33
	v_fma_f16 v23, v20, s14, v23
	v_fma_f16 v20, v20, s14, v39
	;; [unrolled: 1-line block ×3, first 2 shown]
	v_sub_f16_e32 v42, v35, v36
	v_fma_f16 v6, v26, s16, v6
	v_fma_f16 v39, v42, s15, v39
	;; [unrolled: 1-line block ×5, first 2 shown]
	v_sub_f16_e32 v5, v95, v94
	v_sub_f16_e32 v6, v40, v96
	v_add_f16_e32 v5, v5, v6
	v_add_f16_e32 v6, v94, v96
	v_fma_f16 v6, v6, -0.5, v32
	v_fma_f16 v39, v42, s16, v6
	v_fma_f16 v6, v42, s12, v6
	;; [unrolled: 1-line block ×6, first 2 shown]
	v_add_f16_e32 v5, v32, v94
	v_add_f16_e32 v5, v5, v95
	v_sub_f16_e32 v26, v34, v35
	v_sub_f16_e32 v39, v33, v36
	v_add_f16_e32 v5, v5, v40
	v_add_f16_e32 v26, v26, v39
	v_lshrrev_b32_e32 v32, 16, v32
	v_add_f16_e32 v39, v35, v36
	v_add_f16_e32 v50, v5, v96
	v_sub_f16_e32 v5, v94, v96
	v_fma_f16 v39, v39, -0.5, v32
	v_sub_f16_e32 v6, v95, v40
	v_fma_f16 v40, v5, s16, v39
	v_fma_f16 v39, v5, s12, v39
	;; [unrolled: 1-line block ×5, first 2 shown]
	v_add_f16_e32 v7, v7, v57
	v_fma_f16 v57, v26, s14, v40
	v_fma_f16 v56, v26, s14, v39
	v_add_f16_e32 v26, v34, v33
	v_fma_f16 v26, v26, -0.5, v32
	v_add_f16_e32 v32, v32, v34
	v_add_f16_e32 v32, v32, v35
	;; [unrolled: 1-line block ×3, first 2 shown]
	v_sub_f16_e32 v34, v35, v34
	v_add_f16_e32 v51, v32, v33
	v_sub_f16_e32 v32, v36, v33
	v_fma_f16 v33, v6, s12, v26
	v_fma_f16 v6, v6, s16, v26
	;; [unrolled: 1-line block ×3, first 2 shown]
	v_add_f16_e32 v32, v34, v32
	v_fma_f16 v26, v5, s17, v33
	v_fma_f16 v5, v5, s15, v6
	;; [unrolled: 1-line block ×3, first 2 shown]
	v_pack_b32_f16 v5, v37, v21
	ds_write_b32 v85, v5 offset:80
	v_mul_u32_u24_e32 v5, 25, v38
	v_add_lshl_u32 v86, v5, v41, 2
	v_pack_b32_f16 v5, v7, v44
	v_pack_b32_f16 v6, v88, v98
	ds_write2_b32 v86, v5, v6 offset1:5
	v_pack_b32_f16 v5, v97, v24
	v_pack_b32_f16 v6, v43, v22
	v_add_f16_e32 v4, v4, v92
	ds_write2_b32 v86, v5, v6 offset0:10 offset1:15
	v_pack_b32_f16 v5, v28, v29
	v_add_f16_e32 v4, v4, v93
	ds_write_b32 v86, v5 offset:80
	v_mad_legacy_u16 v5, v60, 25, v61
	v_lshlrev_b32_e32 v87, 2, v5
	v_pack_b32_f16 v4, v4, v25
	v_pack_b32_f16 v5, v91, v89
	ds_write2_b32 v87, v4, v5 offset1:5
	v_pack_b32_f16 v4, v99, v23
	v_pack_b32_f16 v5, v45, v20
	v_fma_f16 v59, v32, s14, v26
	ds_write2_b32 v87, v4, v5 offset0:10 offset1:15
	v_pack_b32_f16 v4, v27, v90
	v_mad_legacy_u16 v88, v62, 25, v63
	ds_write_b32 v87, v4 offset:80
	s_and_saveexec_b64 s[14:15], s[0:1]
	s_cbranch_execz .LBB0_11
; %bb.10:
	s_mov_b32 s12, 0x5040100
	v_lshlrev_b32_e32 v4, 2, v88
	v_perm_b32 v5, v51, v50, s12
	v_perm_b32 v6, v57, v52, s12
	ds_write2_b32 v4, v5, v6 offset1:5
	v_perm_b32 v5, v59, v54, s12
	v_perm_b32 v6, v58, v55, s12
	ds_write2_b32 v4, v5, v6 offset0:10 offset1:15
	v_perm_b32 v5, v56, v53, s12
	ds_write_b32 v4, v5 offset:80
.LBB0_11:
	s_or_b64 exec, exec, s[14:15]
	v_add_u32_e32 v4, 0x300, v64
	s_waitcnt lgkmcnt(0)
	s_barrier
	ds_read2_b32 v[32:33], v4 offset0:58 offset1:208
	v_add_u32_e32 v4, 0xc00, v64
	ds_read2_b32 v[38:39], v4 offset0:32 offset1:157
	v_add_u32_e32 v4, 0x1000, v64
	;; [unrolled: 2-line block ×5, first 2 shown]
	ds_read2_b32 v[34:35], v64 offset1:125
	ds_read2_b32 v[40:41], v4 offset0:45 offset1:170
	ds_read_b32 v60, v64 offset:7400
	s_and_saveexec_b64 s[14:15], s[0:1]
	s_cbranch_execz .LBB0_13
; %bb.12:
	ds_read_b32 v50, v64 offset:1500
	ds_read_b32 v52, v64 offset:3100
	;; [unrolled: 1-line block ×5, first 2 shown]
	s_waitcnt lgkmcnt(4)
	v_lshrrev_b32_e32 v51, 16, v50
	s_waitcnt lgkmcnt(3)
	v_lshrrev_b32_e32 v57, 16, v52
	;; [unrolled: 2-line block ×5, first 2 shown]
.LBB0_13:
	s_or_b64 exec, exec, s[14:15]
	v_mov_b32_e32 v4, 41
	v_mul_lo_u16_sdwa v5, v78, v4 dst_sel:DWORD dst_unused:UNUSED_PAD src0_sel:BYTE_0 src1_sel:DWORD
	v_mul_lo_u16_sdwa v4, v31, v4 dst_sel:DWORD dst_unused:UNUSED_PAD src0_sel:BYTE_0 src1_sel:DWORD
	v_lshrrev_b16_e32 v61, 10, v5
	v_lshrrev_b16_e32 v63, 10, v4
	v_mul_lo_u16_e32 v5, 25, v61
	v_mul_lo_u16_e32 v4, 25, v63
	v_sub_u16_e32 v5, v78, v5
	v_sub_u16_e32 v4, v31, v4
	v_and_b32_e32 v62, 0xff, v5
	v_and_b32_e32 v89, 0xff, v4
	v_lshlrev_b32_e32 v5, 4, v62
	v_lshlrev_b32_e32 v4, 4, v89
	s_movk_i32 s12, 0x47af
	global_load_dwordx4 v[20:23], v5, s[4:5] offset:80
	global_load_dwordx4 v[24:27], v4, s[4:5] offset:80
	v_mul_u32_u24_sdwa v4, v30, s12 dst_sel:DWORD dst_unused:UNUSED_PAD src0_sel:WORD_0 src1_sel:DWORD
	v_sub_u16_sdwa v5, v30, v4 dst_sel:DWORD dst_unused:UNUSED_PAD src0_sel:DWORD src1_sel:WORD_1
	v_lshrrev_b16_e32 v5, 1, v5
	v_add_u16_sdwa v4, v5, v4 dst_sel:DWORD dst_unused:UNUSED_PAD src0_sel:DWORD src1_sel:WORD_1
	v_lshrrev_b16_e32 v92, 4, v4
	v_mul_lo_u16_e32 v4, 25, v92
	v_sub_u16_e32 v101, v30, v4
	v_lshlrev_b16_e32 v4, 4, v101
	v_mov_b32_e32 v6, s5
	v_add_co_u32_e32 v4, vcc, s4, v4
	v_addc_co_u32_e32 v5, vcc, 0, v6, vcc
	global_load_dwordx4 v[28:31], v[4:5], off offset:80
	v_mul_u32_u24_sdwa v4, v46, s12 dst_sel:DWORD dst_unused:UNUSED_PAD src0_sel:WORD_0 src1_sel:DWORD
	v_sub_u16_sdwa v5, v46, v4 dst_sel:DWORD dst_unused:UNUSED_PAD src0_sel:DWORD src1_sel:WORD_1
	v_lshrrev_b16_e32 v5, 1, v5
	v_add_u16_sdwa v4, v5, v4 dst_sel:DWORD dst_unused:UNUSED_PAD src0_sel:DWORD src1_sel:WORD_1
	v_lshrrev_b16_e32 v4, 4, v4
	v_mul_lo_u16_e32 v4, 25, v4
	v_sub_u16_e32 v46, v46, v4
	v_lshlrev_b16_e32 v4, 4, v46
	v_add_co_u32_e32 v4, vcc, s4, v4
	v_addc_co_u32_e32 v5, vcc, 0, v6, vcc
	global_load_dwordx4 v[4:7], v[4:5], off offset:80
	s_waitcnt lgkmcnt(7)
	v_lshrrev_b32_e32 v91, 16, v33
	s_waitcnt lgkmcnt(4)
	v_lshrrev_b32_e32 v95, 16, v44
	;; [unrolled: 2-line block ×3, first 2 shown]
	v_lshrrev_b32_e32 v104, 16, v36
	s_waitcnt lgkmcnt(1)
	v_lshrrev_b32_e32 v99, 16, v40
	v_lshrrev_b32_e32 v93, 16, v38
	;; [unrolled: 1-line block ×6, first 2 shown]
	s_waitcnt lgkmcnt(0)
	v_lshrrev_b32_e32 v106, 16, v60
	s_movk_i32 s14, 0x3b9c
	s_movk_i32 s12, 0x38b4
	;; [unrolled: 1-line block ×3, first 2 shown]
	v_lshrrev_b32_e32 v90, 16, v34
	v_lshrrev_b32_e32 v100, 16, v45
	v_lshrrev_b32_e32 v96, 16, v35
	v_lshrrev_b32_e32 v102, 16, v32
	v_mul_u32_u24_e32 v61, 0x7d, v61
	s_waitcnt vmcnt(0)
	s_barrier
	v_mul_f16_sdwa v107, v91, v20 dst_sel:DWORD dst_unused:UNUSED_PAD src0_sel:DWORD src1_sel:WORD_1
	v_mul_f16_sdwa v108, v33, v20 dst_sel:DWORD dst_unused:UNUSED_PAD src0_sel:DWORD src1_sel:WORD_1
	;; [unrolled: 1-line block ×3, first 2 shown]
	v_fma_f16 v107, v33, v20, -v107
	v_mul_f16_sdwa v114, v44, v23 dst_sel:DWORD dst_unused:UNUSED_PAD src0_sel:DWORD src1_sel:WORD_1
	v_fma_f16 v44, v44, v23, -v113
	v_mul_f16_sdwa v112, v37, v22 dst_sel:DWORD dst_unused:UNUSED_PAD src0_sel:DWORD src1_sel:WORD_1
	v_mul_f16_sdwa v119, v99, v26 dst_sel:DWORD dst_unused:UNUSED_PAD src0_sel:DWORD src1_sel:WORD_1
	;; [unrolled: 1-line block ×5, first 2 shown]
	v_fma_f16 v94, v94, v22, v112
	v_fma_f16 v112, v40, v26, -v119
	v_mul_f16_sdwa v110, v38, v21 dst_sel:DWORD dst_unused:UNUSED_PAD src0_sel:DWORD src1_sel:WORD_1
	v_mul_f16_sdwa v115, v97, v24 dst_sel:DWORD dst_unused:UNUSED_PAD src0_sel:DWORD src1_sel:WORD_1
	;; [unrolled: 1-line block ×3, first 2 shown]
	v_fma_f16 v113, v43, v28, -v33
	v_mul_f16_sdwa v33, v43, v28 dst_sel:DWORD dst_unused:UNUSED_PAD src0_sel:DWORD src1_sel:WORD_1
	v_fma_f16 v43, v103, v28, v33
	v_mul_f16_sdwa v33, v104, v29 dst_sel:DWORD dst_unused:UNUSED_PAD src0_sel:DWORD src1_sel:WORD_1
	v_fma_f16 v103, v36, v29, -v33
	v_mul_f16_sdwa v33, v36, v29 dst_sel:DWORD dst_unused:UNUSED_PAD src0_sel:DWORD src1_sel:WORD_1
	v_fma_f16 v104, v104, v29, v33
	v_mul_f16_sdwa v33, v105, v30 dst_sel:DWORD dst_unused:UNUSED_PAD src0_sel:DWORD src1_sel:WORD_1
	v_fma_f16 v91, v91, v20, v108
	v_fma_f16 v108, v38, v21, -v109
	v_fma_f16 v109, v37, v22, -v111
	v_fma_f16 v95, v95, v23, v114
	v_mul_f16_sdwa v40, v55, v6 dst_sel:DWORD dst_unused:UNUSED_PAD src0_sel:DWORD src1_sel:WORD_1
	v_fma_f16 v114, v41, v30, -v33
	v_mul_f16_sdwa v33, v41, v30 dst_sel:DWORD dst_unused:UNUSED_PAD src0_sel:DWORD src1_sel:WORD_1
	v_mul_f16_sdwa v36, v52, v4 dst_sel:DWORD dst_unused:UNUSED_PAD src0_sel:DWORD src1_sel:WORD_1
	v_fma_f16 v41, v58, v6, v40
	v_mul_f16_sdwa v40, v56, v7 dst_sel:DWORD dst_unused:UNUSED_PAD src0_sel:DWORD src1_sel:WORD_1
	v_mul_f16_sdwa v116, v42, v24 dst_sel:DWORD dst_unused:UNUSED_PAD src0_sel:DWORD src1_sel:WORD_1
	;; [unrolled: 1-line block ×3, first 2 shown]
	v_fma_f16 v93, v93, v21, v110
	v_fma_f16 v110, v42, v24, -v115
	v_fma_f16 v105, v105, v30, v33
	v_mul_f16_sdwa v33, v106, v31 dst_sel:DWORD dst_unused:UNUSED_PAD src0_sel:DWORD src1_sel:WORD_1
	v_fma_f16 v37, v57, v4, v36
	v_mul_f16_sdwa v36, v59, v5 dst_sel:DWORD dst_unused:UNUSED_PAD src0_sel:DWORD src1_sel:WORD_1
	v_mul_f16_sdwa v38, v54, v5 dst_sel:DWORD dst_unused:UNUSED_PAD src0_sel:DWORD src1_sel:WORD_1
	v_fma_f16 v40, v53, v7, -v40
	v_mul_f16_sdwa v42, v53, v7 dst_sel:DWORD dst_unused:UNUSED_PAD src0_sel:DWORD src1_sel:WORD_1
	v_add_f16_e32 v53, v108, v109
	v_mul_f16_sdwa v118, v39, v25 dst_sel:DWORD dst_unused:UNUSED_PAD src0_sel:DWORD src1_sel:WORD_1
	v_fma_f16 v111, v39, v25, -v117
	v_fma_f16 v115, v60, v31, -v33
	v_mul_f16_sdwa v33, v60, v31 dst_sel:DWORD dst_unused:UNUSED_PAD src0_sel:DWORD src1_sel:WORD_1
	v_fma_f16 v36, v54, v5, -v36
	v_fma_f16 v39, v59, v5, v38
	v_mul_f16_sdwa v38, v58, v6 dst_sel:DWORD dst_unused:UNUSED_PAD src0_sel:DWORD src1_sel:WORD_1
	v_fma_f16 v53, v53, -0.5, v34
	v_sub_f16_e32 v54, v91, v95
	v_fma_f16 v60, v106, v31, v33
	v_mul_f16_sdwa v33, v57, v4 dst_sel:DWORD dst_unused:UNUSED_PAD src0_sel:DWORD src1_sel:WORD_1
	v_fma_f16 v38, v55, v6, -v38
	v_fma_f16 v42, v56, v7, v42
	v_fma_f16 v55, v54, s14, v53
	v_sub_f16_e32 v56, v93, v94
	v_sub_f16_e32 v57, v107, v108
	;; [unrolled: 1-line block ×3, first 2 shown]
	v_fma_f16 v53, v54, s16, v53
	v_fma_f16 v55, v56, s12, v55
	v_add_f16_e32 v57, v57, v58
	v_fma_f16 v53, v56, s17, v53
	v_fma_f16 v33, v52, v4, -v33
	v_add_f16_e32 v52, v34, v107
	v_fma_f16 v55, v57, s15, v55
	v_fma_f16 v53, v57, s15, v53
	v_add_f16_e32 v57, v107, v44
	v_add_f16_e32 v52, v52, v108
	v_fma_f16 v34, v57, -0.5, v34
	v_add_f16_e32 v52, v52, v109
	v_fma_f16 v57, v56, s16, v34
	v_sub_f16_e32 v58, v108, v107
	v_sub_f16_e32 v59, v109, v44
	v_fma_f16 v34, v56, s14, v34
	v_add_f16_e32 v56, v93, v94
	v_add_f16_e32 v52, v52, v44
	v_fma_f16 v57, v54, s12, v57
	v_add_f16_e32 v58, v58, v59
	v_fma_f16 v34, v54, s17, v34
	v_fma_f16 v56, v56, -0.5, v90
	v_sub_f16_e32 v44, v107, v44
	v_fma_f16 v57, v58, s15, v57
	v_fma_f16 v34, v58, s15, v34
	;; [unrolled: 1-line block ×3, first 2 shown]
	v_sub_f16_e32 v59, v108, v109
	v_sub_f16_e32 v106, v91, v93
	v_sub_f16_e32 v107, v95, v94
	v_fma_f16 v56, v44, s14, v56
	v_fma_f16 v58, v59, s17, v58
	v_add_f16_e32 v106, v106, v107
	v_fma_f16 v56, v59, s12, v56
	v_fma_f16 v58, v106, s15, v58
	;; [unrolled: 1-line block ×3, first 2 shown]
	v_add_f16_e32 v106, v91, v95
	v_add_f16_e32 v54, v90, v91
	v_fma_f16 v90, v106, -0.5, v90
	v_mul_f16_sdwa v122, v45, v27 dst_sel:DWORD dst_unused:UNUSED_PAD src0_sel:DWORD src1_sel:WORD_1
	v_add_f16_e32 v54, v54, v93
	v_fma_f16 v106, v59, s14, v90
	v_sub_f16_e32 v91, v93, v91
	v_sub_f16_e32 v93, v94, v95
	v_fma_f16 v59, v59, s16, v90
	v_mul_f16_sdwa v121, v100, v27 dst_sel:DWORD dst_unused:UNUSED_PAD src0_sel:DWORD src1_sel:WORD_1
	v_fma_f16 v97, v97, v24, v116
	v_fma_f16 v100, v100, v27, v122
	;; [unrolled: 1-line block ×3, first 2 shown]
	v_add_f16_e32 v91, v91, v93
	v_fma_f16 v44, v44, s12, v59
	v_add_f16_e32 v90, v111, v112
	v_fma_f16 v98, v98, v25, v118
	v_fma_f16 v99, v99, v26, v120
	v_fma_f16 v45, v45, v27, -v121
	v_add_f16_e32 v54, v54, v94
	v_fma_f16 v106, v91, s15, v106
	v_fma_f16 v44, v91, s15, v44
	v_fma_f16 v90, v90, -0.5, v35
	v_sub_f16_e32 v91, v97, v100
	v_add_f16_e32 v54, v54, v95
	v_fma_f16 v93, v91, s14, v90
	v_sub_f16_e32 v94, v98, v99
	v_sub_f16_e32 v95, v110, v111
	;; [unrolled: 1-line block ×3, first 2 shown]
	v_fma_f16 v90, v91, s16, v90
	v_add_f16_e32 v95, v95, v107
	v_fma_f16 v90, v94, s17, v90
	v_fma_f16 v108, v95, s15, v90
	v_add_f16_e32 v90, v110, v45
	v_add_f16_e32 v59, v35, v110
	v_fma_f16 v93, v94, s12, v93
	v_fma_f16 v35, v90, -0.5, v35
	v_fma_f16 v107, v95, s15, v93
	v_fma_f16 v90, v94, s16, v35
	v_sub_f16_e32 v93, v111, v110
	v_sub_f16_e32 v95, v112, v45
	v_fma_f16 v90, v91, s12, v90
	v_add_f16_e32 v93, v93, v95
	v_fma_f16 v109, v93, s15, v90
	v_add_f16_e32 v90, v96, v97
	v_add_f16_e32 v90, v90, v98
	;; [unrolled: 1-line block ×5, first 2 shown]
	v_fma_f16 v35, v94, s14, v35
	v_add_f16_e32 v116, v90, v100
	v_add_f16_e32 v90, v98, v99
	;; [unrolled: 1-line block ×3, first 2 shown]
	v_fma_f16 v35, v91, s17, v35
	v_fma_f16 v90, v90, -0.5, v96
	v_sub_f16_e32 v45, v110, v45
	v_fma_f16 v35, v93, s15, v35
	v_fma_f16 v91, v45, s16, v90
	v_sub_f16_e32 v93, v111, v112
	v_sub_f16_e32 v94, v97, v98
	;; [unrolled: 1-line block ×3, first 2 shown]
	v_fma_f16 v90, v45, s14, v90
	v_add_f16_e32 v94, v94, v95
	v_fma_f16 v90, v93, s12, v90
	v_fma_f16 v111, v94, s15, v90
	v_add_f16_e32 v90, v97, v100
	v_fma_f16 v91, v93, s17, v91
	v_fma_f16 v90, v90, -0.5, v96
	v_fma_f16 v110, v94, s15, v91
	v_fma_f16 v91, v93, s14, v90
	;; [unrolled: 1-line block ×5, first 2 shown]
	v_add_f16_e32 v90, v32, v113
	v_add_f16_e32 v90, v90, v103
	v_sub_f16_e32 v94, v98, v97
	v_sub_f16_e32 v95, v99, v100
	v_add_f16_e32 v90, v90, v114
	v_add_f16_e32 v94, v94, v95
	;; [unrolled: 1-line block ×4, first 2 shown]
	v_fma_f16 v112, v94, s15, v91
	v_fma_f16 v90, v90, -0.5, v32
	v_sub_f16_e32 v91, v43, v60
	v_fma_f16 v45, v94, s15, v45
	v_fma_f16 v93, v91, s14, v90
	v_sub_f16_e32 v94, v104, v105
	v_sub_f16_e32 v95, v113, v103
	;; [unrolled: 1-line block ×3, first 2 shown]
	v_fma_f16 v90, v91, s16, v90
	v_add_f16_e32 v95, v95, v96
	v_fma_f16 v90, v94, s17, v90
	v_fma_f16 v119, v95, s15, v90
	v_add_f16_e32 v90, v113, v115
	v_fma_f16 v93, v94, s12, v93
	v_fma_f16 v32, v90, -0.5, v32
	v_fma_f16 v118, v95, s15, v93
	v_fma_f16 v90, v94, s16, v32
	v_sub_f16_e32 v93, v103, v113
	v_sub_f16_e32 v95, v114, v115
	v_fma_f16 v90, v91, s12, v90
	v_add_f16_e32 v93, v93, v95
	v_fma_f16 v120, v93, s15, v90
	v_add_f16_e32 v90, v102, v43
	v_add_f16_e32 v90, v90, v104
	;; [unrolled: 1-line block ×3, first 2 shown]
	v_fma_f16 v32, v94, s14, v32
	v_add_f16_e32 v121, v90, v60
	v_add_f16_e32 v90, v104, v105
	v_fma_f16 v32, v91, s17, v32
	v_fma_f16 v90, v90, -0.5, v102
	v_sub_f16_e32 v91, v113, v115
	v_fma_f16 v32, v93, s15, v32
	v_fma_f16 v93, v91, s16, v90
	v_sub_f16_e32 v94, v103, v114
	v_sub_f16_e32 v95, v43, v104
	;; [unrolled: 1-line block ×3, first 2 shown]
	v_fma_f16 v90, v91, s14, v90
	v_add_f16_e32 v95, v95, v96
	v_fma_f16 v90, v94, s12, v90
	v_fma_f16 v113, v95, s15, v90
	v_add_f16_e32 v90, v43, v60
	v_fma_f16 v93, v94, s17, v93
	v_fma_f16 v90, v90, -0.5, v102
	v_fma_f16 v103, v95, s15, v93
	v_fma_f16 v93, v94, s14, v90
	v_sub_f16_e32 v43, v104, v43
	v_sub_f16_e32 v60, v105, v60
	v_fma_f16 v90, v94, s16, v90
	v_fma_f16 v93, v91, s17, v93
	v_add_f16_e32 v43, v43, v60
	v_fma_f16 v90, v91, s12, v90
	v_fma_f16 v60, v43, s15, v93
	;; [unrolled: 1-line block ×3, first 2 shown]
	v_add_f16_e32 v90, v36, v38
	v_fma_f16 v90, v90, -0.5, v50
	v_sub_f16_e32 v91, v37, v42
	v_fma_f16 v93, v91, s14, v90
	v_sub_f16_e32 v96, v39, v41
	v_sub_f16_e32 v94, v33, v36
	;; [unrolled: 1-line block ×3, first 2 shown]
	v_fma_f16 v90, v91, s16, v90
	v_add_f16_e32 v94, v94, v95
	v_fma_f16 v90, v96, s17, v90
	v_fma_f16 v95, v94, s15, v90
	v_add_f16_e32 v90, v33, v40
	v_fma_f16 v93, v96, s12, v93
	v_fma_f16 v90, v90, -0.5, v50
	v_fma_f16 v93, v94, s15, v93
	v_fma_f16 v94, v96, s16, v90
	v_sub_f16_e32 v97, v36, v33
	v_sub_f16_e32 v98, v38, v40
	v_fma_f16 v90, v96, s14, v90
	v_add_f16_e32 v97, v97, v98
	v_fma_f16 v90, v91, s17, v90
	v_fma_f16 v96, v97, s15, v90
	v_add_f16_e32 v90, v39, v41
	v_fma_f16 v94, v91, s12, v94
	v_fma_f16 v90, v90, -0.5, v51
	v_sub_f16_e32 v91, v33, v40
	v_fma_f16 v94, v97, s15, v94
	v_fma_f16 v97, v91, s16, v90
	v_sub_f16_e32 v100, v36, v38
	v_sub_f16_e32 v98, v37, v39
	;; [unrolled: 1-line block ×3, first 2 shown]
	v_fma_f16 v90, v91, s14, v90
	v_fma_f16 v97, v100, s17, v97
	v_add_f16_e32 v98, v98, v99
	v_fma_f16 v90, v100, s12, v90
	v_fma_f16 v97, v98, s15, v97
	;; [unrolled: 1-line block ×3, first 2 shown]
	v_add_f16_e32 v90, v37, v42
	v_fma_f16 v90, v90, -0.5, v51
	v_fma_f16 v99, v100, s14, v90
	v_sub_f16_e32 v102, v39, v37
	v_sub_f16_e32 v104, v41, v42
	v_fma_f16 v90, v100, s16, v90
	v_add_f16_e32 v102, v102, v104
	v_fma_f16 v90, v91, s12, v90
	v_fma_f16 v100, v102, s15, v90
	v_add_lshl_u32 v90, v61, v62, 2
	v_pack_b32_f16 v52, v52, v54
	v_pack_b32_f16 v54, v55, v58
	ds_write2_b32 v90, v52, v54 offset1:25
	v_pack_b32_f16 v52, v57, v106
	v_pack_b32_f16 v34, v34, v44
	ds_write2_b32 v90, v52, v34 offset0:50 offset1:75
	v_pack_b32_f16 v34, v53, v56
	ds_write_b32 v90, v34 offset:400
	v_mul_u32_u24_e32 v34, 0x7d, v63
	v_fma_f16 v99, v91, s17, v99
	v_add_lshl_u32 v91, v34, v89, 2
	v_pack_b32_f16 v34, v59, v116
	v_pack_b32_f16 v44, v107, v110
	ds_write2_b32 v91, v34, v44 offset1:25
	v_pack_b32_f16 v34, v109, v112
	v_pack_b32_f16 v35, v35, v45
	s_movk_i32 s12, 0x7d
	ds_write2_b32 v91, v34, v35 offset0:50 offset1:75
	v_pack_b32_f16 v34, v108, v111
	ds_write_b32 v91, v34 offset:400
	v_mad_legacy_u16 v34, v92, s12, v101
	v_lshlrev_b32_e32 v92, 2, v34
	v_pack_b32_f16 v34, v117, v121
	v_pack_b32_f16 v35, v118, v103
	ds_write2_b32 v92, v34, v35 offset1:25
	v_pack_b32_f16 v34, v120, v60
	v_pack_b32_f16 v32, v32, v43
	v_fma_f16 v99, v102, s15, v99
	ds_write2_b32 v92, v34, v32 offset0:50 offset1:75
	v_pack_b32_f16 v32, v119, v113
	v_lshlrev_b32_e32 v89, 2, v46
	ds_write_b32 v92, v32 offset:400
	s_and_saveexec_b64 s[14:15], s[0:1]
	s_cbranch_execz .LBB0_15
; %bb.14:
	v_add_f16_e32 v32, v51, v37
	v_add_f16_e32 v33, v50, v33
	;; [unrolled: 1-line block ×8, first 2 shown]
	s_mov_b32 s12, 0x5040100
	v_pack_b32_f16 v32, v33, v32
	v_perm_b32 v33, v97, v93, s12
	v_add_u32_e32 v34, 0x1c00, v89
	ds_write2_b32 v34, v32, v33 offset0:83 offset1:108
	v_perm_b32 v32, v99, v94, s12
	v_perm_b32 v33, v100, v96, s12
	ds_write2_b32 v34, v32, v33 offset0:133 offset1:158
	v_perm_b32 v32, v98, v95, s12
	ds_write_b32 v89, v32 offset:7900
.LBB0_15:
	s_or_b64 exec, exec, s[14:15]
	v_mad_u64_u32 v[44:45], s[4:5], v78, 60, s[4:5]
	s_waitcnt lgkmcnt(0)
	s_barrier
	global_load_dwordx4 v[32:35], v[44:45], off offset:480
	global_load_dwordx4 v[36:39], v[44:45], off offset:496
	;; [unrolled: 1-line block ×3, first 2 shown]
	ds_read2_b32 v[50:51], v64 offset1:125
	global_load_dwordx3 v[44:46], v[44:45], off offset:528
	v_mov_b32_e32 v56, s13
	v_add_u32_e32 v107, 0x200, v64
	v_add_u32_e32 v109, 0x600, v64
	;; [unrolled: 1-line block ×7, first 2 shown]
	v_addc_co_u32_e64 v110, vcc, 0, v56, s[2:3]
	ds_read2_b32 v[56:57], v107 offset0:122 offset1:247
	ds_read2_b32 v[58:59], v109 offset0:116 offset1:241
	;; [unrolled: 1-line block ×7, first 2 shown]
	s_waitcnt lgkmcnt(7)
	v_lshrrev_b32_e32 v112, 16, v51
	s_waitcnt lgkmcnt(6)
	v_lshrrev_b32_e32 v113, 16, v56
	s_waitcnt lgkmcnt(3)
	v_lshrrev_b32_e32 v119, 16, v62
	s_waitcnt lgkmcnt(1)
	v_lshrrev_b32_e32 v123, 16, v103
	v_lshrrev_b32_e32 v124, 16, v104
	s_waitcnt lgkmcnt(0)
	v_lshrrev_b32_e32 v125, 16, v105
	v_lshrrev_b32_e32 v121, 16, v101
	;; [unrolled: 1-line block ×11, first 2 shown]
	s_mov_b32 s2, 0xb9a8
	s_movk_i32 s3, 0x39a8
	s_mov_b32 s4, 0xbb64
	s_mov_b32 s5, 0xb61f
	s_movk_i32 s12, 0x361f
	s_movk_i32 s13, 0x3b64
	s_waitcnt vmcnt(3)
	v_mul_f16_sdwa v127, v112, v32 dst_sel:DWORD dst_unused:UNUSED_PAD src0_sel:DWORD src1_sel:WORD_1
	v_mul_f16_sdwa v128, v51, v32 dst_sel:DWORD dst_unused:UNUSED_PAD src0_sel:DWORD src1_sel:WORD_1
	v_fma_f16 v51, v51, v32, -v127
	s_waitcnt vmcnt(1)
	v_mul_f16_sdwa v127, v123, v43 dst_sel:DWORD dst_unused:UNUSED_PAD src0_sel:DWORD src1_sel:WORD_1
	v_fma_f16 v127, v103, v43, -v127
	v_mul_f16_sdwa v103, v103, v43 dst_sel:DWORD dst_unused:UNUSED_PAD src0_sel:DWORD src1_sel:WORD_1
	v_fma_f16 v103, v123, v43, v103
	s_waitcnt vmcnt(0)
	v_mul_f16_sdwa v123, v124, v44 dst_sel:DWORD dst_unused:UNUSED_PAD src0_sel:DWORD src1_sel:WORD_1
	v_fma_f16 v123, v104, v44, -v123
	v_mul_f16_sdwa v104, v104, v44 dst_sel:DWORD dst_unused:UNUSED_PAD src0_sel:DWORD src1_sel:WORD_1
	v_fma_f16 v104, v124, v44, v104
	v_mul_f16_sdwa v124, v125, v45 dst_sel:DWORD dst_unused:UNUSED_PAD src0_sel:DWORD src1_sel:WORD_1
	v_mul_f16_sdwa v129, v113, v33 dst_sel:DWORD dst_unused:UNUSED_PAD src0_sel:DWORD src1_sel:WORD_1
	;; [unrolled: 1-line block ×6, first 2 shown]
	v_fma_f16 v124, v105, v45, -v124
	v_mul_f16_sdwa v105, v105, v45 dst_sel:DWORD dst_unused:UNUSED_PAD src0_sel:DWORD src1_sel:WORD_1
	v_mul_f16_sdwa v130, v56, v33 dst_sel:DWORD dst_unused:UNUSED_PAD src0_sel:DWORD src1_sel:WORD_1
	;; [unrolled: 1-line block ×6, first 2 shown]
	v_fma_f16 v56, v56, v33, -v129
	v_fma_f16 v115, v115, v35, v134
	v_fma_f16 v117, v117, v37, v138
	v_fma_f16 v62, v62, v39, -v141
	v_fma_f16 v101, v101, v41, -v145
	v_fma_f16 v105, v125, v45, v105
	v_mul_f16_sdwa v125, v126, v46 dst_sel:DWORD dst_unused:UNUSED_PAD src0_sel:DWORD src1_sel:WORD_1
	v_mul_f16_sdwa v131, v114, v34 dst_sel:DWORD dst_unused:UNUSED_PAD src0_sel:DWORD src1_sel:WORD_1
	;; [unrolled: 1-line block ×6, first 2 shown]
	v_fma_f16 v113, v113, v33, v130
	v_fma_f16 v58, v58, v35, -v133
	v_fma_f16 v60, v60, v37, -v137
	v_fma_f16 v119, v119, v39, v142
	v_fma_f16 v121, v121, v41, v146
	v_fma_f16 v125, v106, v46, -v125
	v_mul_f16_sdwa v106, v106, v46 dst_sel:DWORD dst_unused:UNUSED_PAD src0_sel:DWORD src1_sel:WORD_1
	v_sub_f16_e32 v62, v50, v62
	v_sub_f16_e32 v103, v115, v103
	;; [unrolled: 1-line block ×4, first 2 shown]
	v_mul_f16_sdwa v132, v57, v34 dst_sel:DWORD dst_unused:UNUSED_PAD src0_sel:DWORD src1_sel:WORD_1
	v_mul_f16_sdwa v135, v116, v36 dst_sel:DWORD dst_unused:UNUSED_PAD src0_sel:DWORD src1_sel:WORD_1
	;; [unrolled: 1-line block ×5, first 2 shown]
	v_fma_f16 v57, v57, v34, -v131
	v_fma_f16 v116, v116, v36, v136
	v_fma_f16 v118, v118, v38, v140
	v_fma_f16 v63, v63, v40, -v143
	v_fma_f16 v102, v102, v42, -v147
	v_fma_f16 v106, v126, v46, v106
	v_sub_f16_e32 v119, v108, v119
	v_sub_f16_e32 v126, v58, v127
	v_fma_f16 v115, v115, 2.0, -v103
	v_sub_f16_e32 v121, v113, v121
	v_sub_f16_e32 v124, v60, v124
	v_fma_f16 v117, v117, 2.0, -v105
	v_sub_f16_e32 v103, v62, v103
	v_sub_f16_e32 v105, v101, v105
	v_fma_f16 v112, v112, v32, v128
	v_fma_f16 v114, v114, v34, v132
	v_fma_f16 v59, v59, v36, -v135
	v_fma_f16 v61, v61, v38, -v139
	v_fma_f16 v120, v120, v40, v144
	v_fma_f16 v122, v122, v42, v148
	v_fma_f16 v50, v50, 2.0, -v62
	v_fma_f16 v58, v58, 2.0, -v126
	;; [unrolled: 1-line block ×4, first 2 shown]
	v_sub_f16_e32 v63, v51, v63
	v_sub_f16_e32 v104, v116, v104
	;; [unrolled: 1-line block ×4, first 2 shown]
	v_add_f16_e32 v126, v119, v126
	v_fma_f16 v62, v62, 2.0, -v103
	v_add_f16_e32 v124, v121, v124
	v_fma_f16 v101, v101, 2.0, -v105
	v_fma_f16 v108, v108, 2.0, -v119
	;; [unrolled: 1-line block ×3, first 2 shown]
	v_sub_f16_e32 v120, v112, v120
	v_sub_f16_e32 v123, v59, v123
	v_fma_f16 v116, v116, 2.0, -v104
	v_sub_f16_e32 v122, v114, v122
	v_sub_f16_e32 v125, v61, v125
	v_fma_f16 v118, v118, 2.0, -v106
	v_fma_f16 v119, v119, 2.0, -v126
	;; [unrolled: 1-line block ×3, first 2 shown]
	v_sub_f16_e32 v104, v63, v104
	v_sub_f16_e32 v106, v102, v106
	v_fma_f16 v127, v101, s2, v62
	v_fma_f16 v51, v51, 2.0, -v63
	v_fma_f16 v59, v59, 2.0, -v123
	;; [unrolled: 1-line block ×4, first 2 shown]
	v_add_f16_e32 v123, v120, v123
	v_fma_f16 v63, v63, 2.0, -v104
	v_add_f16_e32 v125, v122, v125
	v_fma_f16 v102, v102, 2.0, -v106
	v_fma_f16 v128, v121, s2, v119
	v_fma_f16 v121, v121, s2, v127
	;; [unrolled: 1-line block ×3, first 2 shown]
	v_fma_f16 v112, v112, 2.0, -v120
	v_fma_f16 v114, v114, 2.0, -v122
	;; [unrolled: 1-line block ×4, first 2 shown]
	v_fma_f16 v101, v101, s3, v128
	v_fma_f16 v128, v124, s3, v126
	;; [unrolled: 1-line block ×4, first 2 shown]
	v_sub_f16_e32 v58, v50, v58
	v_sub_f16_e32 v117, v113, v117
	;; [unrolled: 1-line block ×4, first 2 shown]
	v_fma_f16 v105, v105, s3, v128
	v_fma_f16 v128, v122, s2, v120
	v_fma_f16 v122, v122, s2, v127
	v_sub_f16_e32 v115, v108, v115
	v_sub_f16_e32 v60, v56, v60
	v_fma_f16 v113, v113, 2.0, -v117
	v_sub_f16_e32 v116, v112, v116
	v_sub_f16_e32 v61, v57, v61
	v_fma_f16 v114, v114, 2.0, -v118
	v_fma_f16 v62, v62, 2.0, -v121
	v_sub_f16_e32 v117, v58, v117
	v_fma_f16 v102, v102, s3, v128
	v_fma_f16 v63, v63, 2.0, -v122
	v_sub_f16_e32 v118, v59, v118
	v_fma_f16 v127, v106, s3, v104
	v_fma_f16 v50, v50, 2.0, -v58
	v_fma_f16 v56, v56, 2.0, -v60
	;; [unrolled: 1-line block ×5, first 2 shown]
	v_add_f16_e32 v60, v115, v60
	v_fma_f16 v58, v58, 2.0, -v117
	v_fma_f16 v120, v120, 2.0, -v102
	v_add_f16_e32 v61, v116, v61
	v_fma_f16 v59, v59, 2.0, -v118
	v_fma_f16 v128, v125, s3, v123
	v_fma_f16 v125, v125, s2, v127
	;; [unrolled: 1-line block ×3, first 2 shown]
	v_fma_f16 v108, v108, 2.0, -v115
	v_fma_f16 v112, v112, 2.0, -v116
	;; [unrolled: 1-line block ×5, first 2 shown]
	v_fma_f16 v106, v106, s3, v128
	v_fma_f16 v104, v104, 2.0, -v125
	v_fma_f16 v128, v120, s4, v119
	v_fma_f16 v120, v120, s5, v127
	;; [unrolled: 1-line block ×3, first 2 shown]
	v_sub_f16_e32 v56, v50, v56
	v_sub_f16_e32 v113, v108, v113
	v_fma_f16 v126, v126, 2.0, -v105
	v_sub_f16_e32 v57, v51, v57
	v_sub_f16_e32 v114, v112, v114
	v_fma_f16 v123, v123, 2.0, -v106
	v_fma_f16 v63, v63, s12, v128
	v_fma_f16 v128, v116, s2, v115
	;; [unrolled: 1-line block ×4, first 2 shown]
	v_fma_f16 v50, v50, 2.0, -v56
	v_fma_f16 v108, v108, 2.0, -v113
	;; [unrolled: 1-line block ×4, first 2 shown]
	v_fma_f16 v59, v59, s3, v128
	v_fma_f16 v128, v123, s5, v126
	;; [unrolled: 1-line block ×3, first 2 shown]
	v_sub_f16_e32 v51, v50, v51
	v_sub_f16_e32 v112, v108, v112
	v_fma_f16 v127, v103, 2.0, -v123
	v_fma_f16 v103, v122, s12, v121
	v_fma_f16 v50, v50, 2.0, -v51
	v_fma_f16 v108, v108, 2.0, -v112
	v_fma_f16 v62, v62, 2.0, -v120
	v_fma_f16 v119, v119, 2.0, -v63
	v_fma_f16 v104, v104, s13, v128
	v_fma_f16 v128, v102, s12, v101
	;; [unrolled: 1-line block ×5, first 2 shown]
	v_fma_f16 v58, v58, 2.0, -v116
	v_fma_f16 v115, v115, 2.0, -v59
	;; [unrolled: 1-line block ×3, first 2 shown]
	v_sub_f16_e32 v114, v56, v114
	v_add_f16_e32 v57, v113, v57
	v_fma_f16 v122, v122, s13, v128
	v_fma_f16 v61, v61, s2, v102
	;; [unrolled: 1-line block ×5, first 2 shown]
	v_pack_b32_f16 v50, v50, v108
	v_pack_b32_f16 v62, v62, v119
	v_fma_f16 v56, v56, 2.0, -v114
	v_fma_f16 v113, v113, 2.0, -v57
	v_fma_f16 v121, v121, 2.0, -v129
	v_fma_f16 v101, v101, 2.0, -v122
	v_fma_f16 v102, v106, s5, v102
	v_fma_f16 v103, v125, s12, v103
	ds_write2_b32 v64, v50, v62 offset1:125
	v_pack_b32_f16 v50, v58, v115
	v_pack_b32_f16 v58, v127, v126
	v_fma_f16 v117, v117, 2.0, -v61
	v_fma_f16 v60, v60, 2.0, -v118
	;; [unrolled: 1-line block ×4, first 2 shown]
	ds_write2_b32 v107, v50, v58 offset0:122 offset1:247
	v_pack_b32_f16 v50, v56, v113
	v_pack_b32_f16 v56, v121, v101
	ds_write2_b32 v109, v50, v56 offset0:116 offset1:241
	v_pack_b32_f16 v50, v117, v60
	v_pack_b32_f16 v56, v106, v105
	;; [unrolled: 3-line block ×6, first 2 shown]
	s_movk_i32 s4, 0x1000
	ds_write2_b32 v52, v50, v51 offset0:86 offset1:211
	v_add_co_u32_e32 v50, vcc, s4, v47
	v_addc_co_u32_e32 v51, vcc, 0, v110, vcc
	s_waitcnt lgkmcnt(0)
	s_barrier
	global_load_dword v56, v[50:51], off offset:3904
	s_movk_i32 s2, 0x1f40
	v_add_co_u32_e32 v50, vcc, s2, v47
	v_addc_co_u32_e32 v51, vcc, 0, v110, vcc
	global_load_dword v101, v[50:51], off offset:1600
	global_load_dword v104, v[50:51], off offset:3200
	s_movk_i32 s2, 0x3000
	v_add_co_u32_e32 v58, vcc, s2, v47
	v_addc_co_u32_e32 v59, vcc, 0, v110, vcc
	global_load_dword v112, v[58:59], off offset:512
	global_load_dword v113, v[58:59], off offset:2112
	;; [unrolled: 1-line block ×5, first 2 shown]
	ds_read2_b32 v[60:61], v64 offset1:125
	global_load_dword v117, v[58:59], off offset:1012
	global_load_dword v118, v[58:59], off offset:2612
	s_movk_i32 s2, 0x2000
	s_waitcnt lgkmcnt(0)
	v_lshrrev_b32_e32 v57, 16, v60
	s_waitcnt vmcnt(9)
	v_mul_f16_sdwa v62, v57, v56 dst_sel:DWORD dst_unused:UNUSED_PAD src0_sel:DWORD src1_sel:WORD_1
	v_fma_f16 v62, v60, v56, -v62
	v_mul_f16_sdwa v60, v60, v56 dst_sel:DWORD dst_unused:UNUSED_PAD src0_sel:DWORD src1_sel:WORD_1
	v_fma_f16 v56, v57, v56, v60
	v_pack_b32_f16 v56, v62, v56
	ds_write_b32 v64, v56
	v_add_u32_e32 v56, 0x300, v64
	ds_read2_b32 v[105:106], v56 offset0:58 offset1:208
	global_load_dword v119, v[50:51], off offset:1000
	global_load_dword v120, v[50:51], off offset:2600
	v_add_co_u32_e32 v62, vcc, s2, v47
	v_addc_co_u32_e32 v63, vcc, 0, v110, vcc
	global_load_dword v122, v[62:63], off offset:4008
	s_waitcnt lgkmcnt(0)
	v_lshrrev_b32_e32 v60, 16, v106
	s_waitcnt vmcnt(11)
	v_mul_f16_sdwa v121, v60, v101 dst_sel:DWORD dst_unused:UNUSED_PAD src0_sel:DWORD src1_sel:WORD_1
	v_add_u32_e32 v57, 0xc00, v64
	ds_read2_b32 v[107:108], v57 offset0:32 offset1:157
	v_fma_f16 v62, v106, v101, -v121
	global_load_dword v121, v[58:59], off offset:3112
	global_load_dword v123, v[58:59], off offset:1512
	v_mul_f16_sdwa v63, v106, v101 dst_sel:DWORD dst_unused:UNUSED_PAD src0_sel:DWORD src1_sel:WORD_1
	v_fma_f16 v60, v60, v101, v63
	v_pack_b32_f16 v110, v62, v60
	v_add_u32_e32 v62, 0x1000, v64
	s_waitcnt lgkmcnt(0)
	v_lshrrev_b32_e32 v60, 16, v107
	ds_read2_b32 v[58:59], v62 offset0:26 offset1:176
	s_waitcnt vmcnt(12)
	v_mul_f16_sdwa v63, v60, v104 dst_sel:DWORD dst_unused:UNUSED_PAD src0_sel:DWORD src1_sel:WORD_1
	v_mul_f16_sdwa v101, v107, v104 dst_sel:DWORD dst_unused:UNUSED_PAD src0_sel:DWORD src1_sel:WORD_1
	v_fma_f16 v63, v107, v104, -v63
	v_fma_f16 v60, v60, v104, v101
	v_pack_b32_f16 v124, v63, v60
	v_add_u32_e32 v63, 0x1800, v64
	ds_read2_b32 v[106:107], v63 offset0:64 offset1:189
	s_waitcnt lgkmcnt(1)
	v_lshrrev_b32_e32 v60, 16, v59
	s_waitcnt vmcnt(11)
	v_mul_f16_sdwa v101, v60, v112 dst_sel:DWORD dst_unused:UNUSED_PAD src0_sel:DWORD src1_sel:WORD_1
	v_fma_f16 v101, v59, v112, -v101
	v_mul_f16_sdwa v59, v59, v112 dst_sel:DWORD dst_unused:UNUSED_PAD src0_sel:DWORD src1_sel:WORD_1
	v_fma_f16 v59, v60, v112, v59
	v_pack_b32_f16 v112, v101, v59
	s_waitcnt lgkmcnt(0)
	v_lshrrev_b32_e32 v59, 16, v106
	s_waitcnt vmcnt(10)
	v_mul_f16_sdwa v60, v59, v113 dst_sel:DWORD dst_unused:UNUSED_PAD src0_sel:DWORD src1_sel:WORD_1
	v_mul_f16_sdwa v101, v106, v113 dst_sel:DWORD dst_unused:UNUSED_PAD src0_sel:DWORD src1_sel:WORD_1
	v_fma_f16 v60, v106, v113, -v60
	v_fma_f16 v59, v59, v113, v101
	v_add_u32_e32 v101, 0x800, v64
	v_pack_b32_f16 v106, v60, v59
	ds_read2_b32 v[59:60], v101 offset0:13 offset1:138
	v_lshrrev_b32_e32 v104, 16, v61
	s_waitcnt vmcnt(9)
	v_mul_f16_sdwa v113, v104, v114 dst_sel:DWORD dst_unused:UNUSED_PAD src0_sel:DWORD src1_sel:WORD_1
	v_fma_f16 v113, v61, v114, -v113
	v_mul_f16_sdwa v61, v61, v114 dst_sel:DWORD dst_unused:UNUSED_PAD src0_sel:DWORD src1_sel:WORD_1
	v_fma_f16 v61, v104, v114, v61
	s_waitcnt lgkmcnt(0)
	v_lshrrev_b32_e32 v104, 16, v59
	v_pack_b32_f16 v61, v113, v61
	s_waitcnt vmcnt(8)
	v_mul_f16_sdwa v113, v104, v115 dst_sel:DWORD dst_unused:UNUSED_PAD src0_sel:DWORD src1_sel:WORD_1
	v_fma_f16 v113, v59, v115, -v113
	v_mul_f16_sdwa v59, v59, v115 dst_sel:DWORD dst_unused:UNUSED_PAD src0_sel:DWORD src1_sel:WORD_1
	v_fma_f16 v59, v104, v115, v59
	v_pack_b32_f16 v59, v113, v59
	v_add_u32_e32 v104, 0x1400, v64
	ds_write2_b32 v109, v110, v59 offset0:16 offset1:141
	ds_read2_b32 v[109:110], v104 offset0:45 offset1:170
	v_lshrrev_b32_e32 v59, 16, v108
	s_waitcnt vmcnt(7)
	v_mul_f16_sdwa v113, v59, v116 dst_sel:DWORD dst_unused:UNUSED_PAD src0_sel:DWORD src1_sel:WORD_1
	v_fma_f16 v113, v108, v116, -v113
	v_mul_f16_sdwa v108, v108, v116 dst_sel:DWORD dst_unused:UNUSED_PAD src0_sel:DWORD src1_sel:WORD_1
	v_fma_f16 v59, v59, v116, v108
	s_waitcnt lgkmcnt(0)
	v_lshrrev_b32_e32 v108, 16, v109
	v_pack_b32_f16 v59, v113, v59
	s_waitcnt vmcnt(6)
	v_mul_f16_sdwa v113, v108, v117 dst_sel:DWORD dst_unused:UNUSED_PAD src0_sel:DWORD src1_sel:WORD_1
	v_fma_f16 v113, v109, v117, -v113
	v_mul_f16_sdwa v109, v109, v117 dst_sel:DWORD dst_unused:UNUSED_PAD src0_sel:DWORD src1_sel:WORD_1
	v_fma_f16 v108, v108, v117, v109
	v_pack_b32_f16 v108, v113, v108
	ds_write2_b32 v111, v112, v108 offset0:48 offset1:173
	v_lshrrev_b32_e32 v108, 16, v107
	s_waitcnt vmcnt(5)
	v_mul_f16_sdwa v109, v108, v118 dst_sel:DWORD dst_unused:UNUSED_PAD src0_sel:DWORD src1_sel:WORD_1
	v_fma_f16 v109, v107, v118, -v109
	v_mul_f16_sdwa v107, v107, v118 dst_sel:DWORD dst_unused:UNUSED_PAD src0_sel:DWORD src1_sel:WORD_1
	v_fma_f16 v107, v108, v118, v107
	v_lshrrev_b32_e32 v108, 16, v105
	v_pack_b32_f16 v107, v109, v107
	s_waitcnt vmcnt(4)
	v_mul_f16_sdwa v109, v108, v119 dst_sel:DWORD dst_unused:UNUSED_PAD src0_sel:DWORD src1_sel:WORD_1
	v_fma_f16 v109, v105, v119, -v109
	v_mul_f16_sdwa v105, v105, v119 dst_sel:DWORD dst_unused:UNUSED_PAD src0_sel:DWORD src1_sel:WORD_1
	v_fma_f16 v105, v108, v119, v105
	v_pack_b32_f16 v105, v109, v105
	ds_write2_b32 v64, v61, v105 offset0:125 offset1:250
	v_lshrrev_b32_e32 v61, 16, v60
	s_waitcnt vmcnt(3)
	v_mul_f16_sdwa v105, v61, v120 dst_sel:DWORD dst_unused:UNUSED_PAD src0_sel:DWORD src1_sel:WORD_1
	v_fma_f16 v105, v60, v120, -v105
	v_mul_f16_sdwa v60, v60, v120 dst_sel:DWORD dst_unused:UNUSED_PAD src0_sel:DWORD src1_sel:WORD_1
	v_fma_f16 v60, v61, v120, v60
	v_pack_b32_f16 v60, v105, v60
	ds_write2_b32 v55, v60, v124 offset0:10 offset1:160
	v_lshrrev_b32_e32 v55, 16, v58
	s_waitcnt vmcnt(2)
	v_mul_f16_sdwa v60, v55, v122 dst_sel:DWORD dst_unused:UNUSED_PAD src0_sel:DWORD src1_sel:WORD_1
	v_fma_f16 v60, v58, v122, -v60
	v_mul_f16_sdwa v58, v58, v122 dst_sel:DWORD dst_unused:UNUSED_PAD src0_sel:DWORD src1_sel:WORD_1
	v_fma_f16 v55, v55, v122, v58
	v_pack_b32_f16 v55, v60, v55
	ds_read_b32 v58, v64 offset:7400
	ds_write2_b32 v54, v59, v55 offset0:29 offset1:154
	v_lshrrev_b32_e32 v54, 16, v110
	s_waitcnt vmcnt(0)
	v_mul_f16_sdwa v55, v54, v123 dst_sel:DWORD dst_unused:UNUSED_PAD src0_sel:DWORD src1_sel:WORD_1
	v_mul_f16_sdwa v59, v110, v123 dst_sel:DWORD dst_unused:UNUSED_PAD src0_sel:DWORD src1_sel:WORD_1
	v_fma_f16 v55, v110, v123, -v55
	v_fma_f16 v54, v54, v123, v59
	v_pack_b32_f16 v54, v55, v54
	ds_write2_b32 v53, v54, v106 offset0:42 offset1:192
	s_waitcnt lgkmcnt(2)
	v_lshrrev_b32_e32 v53, 16, v58
	v_mul_f16_sdwa v54, v53, v121 dst_sel:DWORD dst_unused:UNUSED_PAD src0_sel:DWORD src1_sel:WORD_1
	v_mul_f16_sdwa v55, v58, v121 dst_sel:DWORD dst_unused:UNUSED_PAD src0_sel:DWORD src1_sel:WORD_1
	v_fma_f16 v54, v58, v121, -v54
	v_fma_f16 v53, v53, v121, v55
	v_pack_b32_f16 v53, v54, v53
	ds_write2_b32 v52, v107, v53 offset0:61 offset1:186
	s_and_saveexec_b64 s[2:3], s[0:1]
	s_cbranch_execz .LBB0_17
; %bb.16:
	global_load_dword v52, v[50:51], off offset:1500
	global_load_dword v53, v[50:51], off offset:3100
	v_add_co_u32_e32 v50, vcc, s4, v50
	v_addc_co_u32_e32 v51, vcc, 0, v51, vcc
	global_load_dword v54, v[50:51], off offset:604
	global_load_dword v55, v[50:51], off offset:2204
	;; [unrolled: 1-line block ×3, first 2 shown]
	ds_read_b32 v50, v64 offset:1500
	ds_read_b32 v51, v64 offset:3100
	;; [unrolled: 1-line block ×5, first 2 shown]
	s_waitcnt lgkmcnt(4)
	v_lshrrev_b32_e32 v105, 16, v50
	s_waitcnt lgkmcnt(3)
	v_lshrrev_b32_e32 v106, 16, v51
	;; [unrolled: 2-line block ×5, first 2 shown]
	s_waitcnt vmcnt(4)
	v_mul_f16_sdwa v110, v105, v52 dst_sel:DWORD dst_unused:UNUSED_PAD src0_sel:DWORD src1_sel:WORD_1
	v_mul_f16_sdwa v111, v50, v52 dst_sel:DWORD dst_unused:UNUSED_PAD src0_sel:DWORD src1_sel:WORD_1
	s_waitcnt vmcnt(3)
	v_mul_f16_sdwa v112, v106, v53 dst_sel:DWORD dst_unused:UNUSED_PAD src0_sel:DWORD src1_sel:WORD_1
	v_mul_f16_sdwa v113, v51, v53 dst_sel:DWORD dst_unused:UNUSED_PAD src0_sel:DWORD src1_sel:WORD_1
	v_fma_f16 v50, v50, v52, -v110
	v_fma_f16 v52, v105, v52, v111
	v_fma_f16 v51, v51, v53, -v112
	v_fma_f16 v53, v106, v53, v113
	s_waitcnt vmcnt(2)
	v_mul_f16_sdwa v105, v107, v54 dst_sel:DWORD dst_unused:UNUSED_PAD src0_sel:DWORD src1_sel:WORD_1
	v_mul_f16_sdwa v106, v59, v54 dst_sel:DWORD dst_unused:UNUSED_PAD src0_sel:DWORD src1_sel:WORD_1
	s_waitcnt vmcnt(1)
	v_mul_f16_sdwa v110, v108, v55 dst_sel:DWORD dst_unused:UNUSED_PAD src0_sel:DWORD src1_sel:WORD_1
	v_mul_f16_sdwa v111, v60, v55 dst_sel:DWORD dst_unused:UNUSED_PAD src0_sel:DWORD src1_sel:WORD_1
	;; [unrolled: 3-line block ×3, first 2 shown]
	v_pack_b32_f16 v50, v50, v52
	v_pack_b32_f16 v51, v51, v53
	v_fma_f16 v52, v59, v54, -v105
	v_fma_f16 v53, v107, v54, v106
	v_fma_f16 v54, v60, v55, -v110
	v_fma_f16 v55, v108, v55, v111
	;; [unrolled: 2-line block ×3, first 2 shown]
	ds_write_b32 v64, v50 offset:1500
	ds_write_b32 v64, v51 offset:3100
	v_pack_b32_f16 v50, v52, v53
	v_pack_b32_f16 v51, v54, v55
	;; [unrolled: 1-line block ×3, first 2 shown]
	ds_write_b32 v64, v50 offset:4700
	ds_write_b32 v64, v51 offset:6300
	;; [unrolled: 1-line block ×3, first 2 shown]
.LBB0_17:
	s_or_b64 exec, exec, s[2:3]
	s_waitcnt lgkmcnt(0)
	s_barrier
	ds_read2_b32 v[58:59], v64 offset1:125
	ds_read2_b32 v[50:51], v56 offset0:58 offset1:208
	ds_read2_b32 v[60:61], v57 offset0:32 offset1:157
	;; [unrolled: 1-line block ×6, first 2 shown]
	ds_read_b32 v108, v64 offset:7400
	s_and_saveexec_b64 s[2:3], s[0:1]
	s_cbranch_execz .LBB0_19
; %bb.18:
	ds_read_b32 v102, v64 offset:1500
	ds_read_b32 v93, v64 offset:3100
	;; [unrolled: 1-line block ×5, first 2 shown]
	s_waitcnt lgkmcnt(4)
	v_lshrrev_b32_e32 v103, 16, v102
	s_waitcnt lgkmcnt(3)
	v_lshrrev_b32_e32 v97, 16, v93
	;; [unrolled: 2-line block ×5, first 2 shown]
.LBB0_19:
	s_or_b64 exec, exec, s[2:3]
	v_add_f16_e32 v104, v94, v96
	v_fma_f16 v105, v104, -0.5, v102
	v_sub_f16_e32 v107, v97, v98
	s_mov_b32 s2, 0xbb9c
	s_movk_i32 s5, 0x3b9c
	v_fma_f16 v104, v107, s2, v105
	v_sub_f16_e32 v112, v99, v100
	s_mov_b32 s3, 0xb8b4
	v_sub_f16_e32 v106, v93, v94
	v_sub_f16_e32 v113, v95, v96
	v_fma_f16 v105, v107, s5, v105
	s_movk_i32 s12, 0x38b4
	v_fma_f16 v104, v112, s3, v104
	v_add_f16_e32 v106, v106, v113
	s_movk_i32 s4, 0x34f2
	v_fma_f16 v105, v112, s12, v105
	v_fma_f16 v104, v106, s4, v104
	;; [unrolled: 1-line block ×3, first 2 shown]
	v_add_f16_e32 v106, v93, v95
	v_add_f16_e32 v101, v93, v102
	v_fma_f16 v102, v106, -0.5, v102
	v_fma_f16 v106, v112, s5, v102
	v_sub_f16_e32 v113, v94, v93
	v_sub_f16_e32 v114, v96, v95
	v_fma_f16 v102, v112, s2, v102
	v_add_f16_e32 v101, v94, v101
	v_fma_f16 v106, v107, s3, v106
	v_add_f16_e32 v113, v113, v114
	;; [unrolled: 2-line block ×3, first 2 shown]
	v_add_f16_e32 v101, v96, v101
	v_fma_f16 v106, v113, s4, v106
	v_fma_f16 v107, v113, s4, v102
	v_fma_f16 v112, v112, -0.5, v103
	v_sub_f16_e32 v113, v93, v95
	v_add_f16_e32 v101, v95, v101
	v_fma_f16 v93, v113, s5, v112
	v_sub_f16_e32 v96, v94, v96
	v_sub_f16_e32 v94, v97, v99
	;; [unrolled: 1-line block ×3, first 2 shown]
	v_fma_f16 v93, v96, s12, v93
	v_add_f16_e32 v95, v94, v95
	v_add_f16_e32 v102, v97, v103
	v_fma_f16 v94, v95, s4, v93
	v_fma_f16 v93, v113, s2, v112
	v_add_f16_e32 v102, v99, v102
	v_fma_f16 v93, v96, s3, v93
	v_add_f16_e32 v102, v100, v102
	;; [unrolled: 2-line block ×3, first 2 shown]
	v_add_f16_e32 v102, v98, v102
	v_fma_f16 v103, v95, -0.5, v103
	v_sub_f16_e32 v97, v99, v97
	v_sub_f16_e32 v98, v100, v98
	v_fma_f16 v95, v96, s2, v103
	v_add_f16_e32 v97, v97, v98
	v_fma_f16 v96, v96, s5, v103
	s_waitcnt lgkmcnt(4)
	v_pk_add_f16 v98, v60, v53
	s_waitcnt lgkmcnt(3)
	v_pk_add_f16 v99, v51, v62 neg_lo:[0,1] neg_hi:[0,1]
	v_pk_add_f16 v109, v58, v51
	v_fma_f16 v95, v113, s12, v95
	v_fma_f16 v96, v113, s3, v96
	v_pk_fma_f16 v98, v98, 0.5, v58 op_sel_hi:[1,0,1] neg_lo:[1,0,0] neg_hi:[1,0,0]
	v_pk_mul_f16 v100, v99, s5 op_sel_hi:[1,0]
	v_pk_add_f16 v103, v60, v53 neg_lo:[0,1] neg_hi:[0,1]
	v_pk_add_f16 v112, v51, v60 neg_lo:[0,1] neg_hi:[0,1]
	;; [unrolled: 1-line block ×3, first 2 shown]
	v_fma_f16 v95, v97, s4, v95
	v_fma_f16 v96, v97, s4, v96
	v_pk_add_f16 v97, v109, v60
	v_pk_mul_f16 v109, v103, s12 op_sel_hi:[1,0]
	v_pk_add_f16 v112, v112, v113
	v_pk_add_f16 v113, v98, v100 op_sel:[0,1] op_sel_hi:[1,0] neg_lo:[0,1] neg_hi:[0,1]
	v_pk_add_f16 v98, v98, v100 op_sel:[0,1] op_sel_hi:[1,0]
	v_pk_add_f16 v100, v113, v109 op_sel:[0,1] op_sel_hi:[1,0] neg_lo:[0,1] neg_hi:[0,1]
	s_mov_b32 s2, 0xffff
	v_pk_add_f16 v98, v98, v109 op_sel:[0,1] op_sel_hi:[1,0]
	v_pk_add_f16 v97, v97, v53
	v_bfi_b32 v109, s2, v100, v98
	v_pk_add_f16 v97, v97, v62
	v_pk_fma_f16 v109, v112, s4, v109 op_sel_hi:[1,0,1]
	s_waitcnt lgkmcnt(0)
	s_barrier
	ds_write2_b32 v81, v97, v109 offset1:1
	v_pk_add_f16 v97, v51, v62
	v_pk_add_f16 v51, v60, v51 neg_lo:[0,1] neg_hi:[0,1]
	v_pk_add_f16 v53, v53, v62 neg_lo:[0,1] neg_hi:[0,1]
	v_pk_fma_f16 v58, v97, 0.5, v58 op_sel_hi:[1,0,1] neg_lo:[1,0,0] neg_hi:[1,0,0]
	v_pk_add_f16 v51, v51, v53
	v_pk_mul_f16 v53, v103, s5 op_sel_hi:[1,0]
	v_pk_mul_f16 v60, v99, s12 op_sel_hi:[1,0]
	v_pk_add_f16 v62, v58, v53 op_sel:[0,1] op_sel_hi:[1,0]
	v_pk_add_f16 v53, v58, v53 op_sel:[0,1] op_sel_hi:[1,0] neg_lo:[0,1] neg_hi:[0,1]
	v_pk_add_f16 v58, v62, v60 op_sel:[0,1] op_sel_hi:[1,0] neg_lo:[0,1] neg_hi:[0,1]
	v_pk_add_f16 v53, v53, v60 op_sel:[0,1] op_sel_hi:[1,0]
	v_bfi_b32 v60, s2, v58, v53
	v_bfi_b32 v53, s2, v53, v58
	v_pk_fma_f16 v60, v51, s4, v60 op_sel_hi:[1,0,1]
	v_pk_fma_f16 v51, v51, s4, v53 op_sel_hi:[1,0,1]
	ds_write2_b32 v81, v60, v51 offset0:2 offset1:3
	v_bfi_b32 v51, s2, v98, v100
	v_pk_add_f16 v53, v61, v56
	v_pk_add_f16 v58, v54, v63 neg_lo:[0,1] neg_hi:[0,1]
	v_pk_fma_f16 v51, v112, s4, v51 op_sel_hi:[1,0,1]
	v_pk_fma_f16 v53, v53, 0.5, v59 op_sel_hi:[1,0,1] neg_lo:[1,0,0] neg_hi:[1,0,0]
	v_pk_mul_f16 v60, v58, s5 op_sel_hi:[1,0]
	v_pk_add_f16 v62, v61, v56 neg_lo:[0,1] neg_hi:[0,1]
	v_pk_add_f16 v97, v54, v61 neg_lo:[0,1] neg_hi:[0,1]
	;; [unrolled: 1-line block ×3, first 2 shown]
	v_pk_add_f16 v110, v59, v54
	ds_write_b32 v81, v51 offset:16
	v_pk_mul_f16 v81, v62, s12 op_sel_hi:[1,0]
	v_pk_add_f16 v97, v97, v98
	v_pk_add_f16 v98, v53, v60 op_sel:[0,1] op_sel_hi:[1,0] neg_lo:[0,1] neg_hi:[0,1]
	v_pk_add_f16 v53, v53, v60 op_sel:[0,1] op_sel_hi:[1,0]
	v_pk_add_f16 v51, v110, v61
	v_pk_add_f16 v60, v98, v81 op_sel:[0,1] op_sel_hi:[1,0] neg_lo:[0,1] neg_hi:[0,1]
	v_pk_add_f16 v53, v53, v81 op_sel:[0,1] op_sel_hi:[1,0]
	v_pk_add_f16 v51, v51, v56
	v_bfi_b32 v81, s2, v60, v53
	v_pk_add_f16 v51, v51, v63
	v_pk_fma_f16 v81, v97, s4, v81 op_sel_hi:[1,0,1]
	ds_write2_b32 v82, v51, v81 offset1:1
	v_pk_add_f16 v51, v54, v63
	v_pk_add_f16 v54, v61, v54 neg_lo:[0,1] neg_hi:[0,1]
	v_pk_add_f16 v56, v56, v63 neg_lo:[0,1] neg_hi:[0,1]
	v_pk_fma_f16 v51, v51, 0.5, v59 op_sel_hi:[1,0,1] neg_lo:[1,0,0] neg_hi:[1,0,0]
	v_pk_add_f16 v54, v54, v56
	v_pk_mul_f16 v56, v62, s5 op_sel_hi:[1,0]
	v_pk_mul_f16 v58, v58, s12 op_sel_hi:[1,0]
	v_pk_add_f16 v59, v51, v56 op_sel:[0,1] op_sel_hi:[1,0]
	v_pk_add_f16 v51, v51, v56 op_sel:[0,1] op_sel_hi:[1,0] neg_lo:[0,1] neg_hi:[0,1]
	v_pk_add_f16 v56, v59, v58 op_sel:[0,1] op_sel_hi:[1,0] neg_lo:[0,1] neg_hi:[0,1]
	v_pk_add_f16 v51, v51, v58 op_sel:[0,1] op_sel_hi:[1,0]
	v_bfi_b32 v58, s2, v56, v51
	v_bfi_b32 v51, s2, v51, v56
	v_pk_fma_f16 v58, v54, s4, v58 op_sel_hi:[1,0,1]
	v_pk_fma_f16 v51, v54, s4, v51 op_sel_hi:[1,0,1]
	ds_write2_b32 v82, v58, v51 offset0:2 offset1:3
	v_bfi_b32 v51, s2, v53, v60
	v_pk_add_f16 v53, v52, v57
	v_pk_add_f16 v54, v55, v108 neg_lo:[0,1] neg_hi:[0,1]
	v_pk_fma_f16 v53, v53, 0.5, v50 op_sel_hi:[1,0,1] neg_lo:[1,0,0] neg_hi:[1,0,0]
	v_pk_mul_f16 v56, v54, s5 op_sel_hi:[1,0]
	v_pk_add_f16 v58, v52, v57 neg_lo:[0,1] neg_hi:[0,1]
	v_pk_add_f16 v60, v55, v52 neg_lo:[0,1] neg_hi:[0,1]
	;; [unrolled: 1-line block ×3, first 2 shown]
	v_pk_add_f16 v111, v50, v55
	v_pk_fma_f16 v51, v97, s4, v51 op_sel_hi:[1,0,1]
	v_pk_mul_f16 v59, v58, s12 op_sel_hi:[1,0]
	v_pk_add_f16 v60, v60, v61
	v_pk_add_f16 v61, v53, v56 op_sel:[0,1] op_sel_hi:[1,0] neg_lo:[0,1] neg_hi:[0,1]
	v_pk_add_f16 v53, v53, v56 op_sel:[0,1] op_sel_hi:[1,0]
	ds_write_b32 v82, v51 offset:16
	v_pk_add_f16 v51, v111, v52
	v_pk_add_f16 v56, v61, v59 op_sel:[0,1] op_sel_hi:[1,0] neg_lo:[0,1] neg_hi:[0,1]
	v_pk_add_f16 v53, v53, v59 op_sel:[0,1] op_sel_hi:[1,0]
	v_pk_add_f16 v51, v51, v57
	v_bfi_b32 v59, s2, v56, v53
	v_pk_add_f16 v51, v51, v108
	v_pk_fma_f16 v59, v60, s4, v59 op_sel_hi:[1,0,1]
	ds_write2_b32 v83, v51, v59 offset1:1
	v_pk_add_f16 v51, v55, v108
	v_pk_fma_f16 v50, v51, 0.5, v50 op_sel_hi:[1,0,1] neg_lo:[1,0,0] neg_hi:[1,0,0]
	v_pk_add_f16 v51, v52, v55 neg_lo:[0,1] neg_hi:[0,1]
	v_pk_add_f16 v52, v57, v108 neg_lo:[0,1] neg_hi:[0,1]
	v_pk_add_f16 v51, v51, v52
	v_pk_mul_f16 v52, v58, s5 op_sel_hi:[1,0]
	v_pk_mul_f16 v54, v54, s12 op_sel_hi:[1,0]
	v_pk_add_f16 v55, v50, v52 op_sel:[0,1] op_sel_hi:[1,0]
	v_pk_add_f16 v50, v50, v52 op_sel:[0,1] op_sel_hi:[1,0] neg_lo:[0,1] neg_hi:[0,1]
	v_pk_add_f16 v52, v55, v54 op_sel:[0,1] op_sel_hi:[1,0] neg_lo:[0,1] neg_hi:[0,1]
	v_pk_add_f16 v50, v50, v54 op_sel:[0,1] op_sel_hi:[1,0]
	v_bfi_b32 v54, s2, v52, v50
	v_bfi_b32 v50, s2, v50, v52
	v_pk_fma_f16 v54, v51, s4, v54 op_sel_hi:[1,0,1]
	v_pk_fma_f16 v50, v51, s4, v50 op_sel_hi:[1,0,1]
	ds_write2_b32 v83, v54, v50 offset0:2 offset1:3
	v_bfi_b32 v50, s2, v53, v56
	v_pk_fma_f16 v50, v60, s4, v50 op_sel_hi:[1,0,1]
	ds_write_b32 v83, v50 offset:16
	s_and_saveexec_b64 s[2:3], s[0:1]
	s_cbranch_execz .LBB0_21
; %bb.20:
	s_mov_b32 s4, 0x5040100
	v_lshlrev_b32_e32 v50, 2, v84
	v_perm_b32 v51, v94, v104, s4
	v_perm_b32 v52, v102, v101, s4
	ds_write2_b32 v50, v52, v51 offset1:1
	v_perm_b32 v51, v96, v107, s4
	v_perm_b32 v52, v95, v106, s4
	ds_write2_b32 v50, v52, v51 offset0:2 offset1:3
	v_perm_b32 v51, v93, v105, s4
	ds_write_b32 v50, v51 offset:16
.LBB0_21:
	s_or_b64 exec, exec, s[2:3]
	v_add_u32_e32 v56, 0x1800, v64
	s_waitcnt lgkmcnt(0)
	s_barrier
	v_add_u32_e32 v54, 0xc00, v64
	ds_read2_b32 v[62:63], v56 offset0:64 offset1:189
	v_add_u32_e32 v56, 0x800, v64
	v_add_u32_e32 v50, 0x300, v64
	ds_read2_b32 v[60:61], v54 offset0:32 offset1:157
	v_add_u32_e32 v54, 0x1000, v64
	ds_read2_b32 v[58:59], v56 offset0:13 offset1:138
	v_add_u32_e32 v56, 0x1400, v64
	ds_read2_b32 v[52:53], v64 offset1:125
	ds_read2_b32 v[50:51], v50 offset0:58 offset1:208
	ds_read2_b32 v[54:55], v54 offset0:26 offset1:176
	ds_read2_b32 v[56:57], v56 offset0:45 offset1:170
	ds_read_b32 v81, v64 offset:7400
	s_and_saveexec_b64 s[2:3], s[0:1]
	s_cbranch_execz .LBB0_23
; %bb.22:
	ds_read_b32 v101, v64 offset:1500
	ds_read_b32 v104, v64 offset:3100
	;; [unrolled: 1-line block ×5, first 2 shown]
	s_waitcnt lgkmcnt(4)
	v_lshrrev_b32_e32 v102, 16, v101
	s_waitcnt lgkmcnt(3)
	v_lshrrev_b32_e32 v94, 16, v104
	;; [unrolled: 2-line block ×5, first 2 shown]
.LBB0_23:
	s_or_b64 exec, exec, s[2:3]
	s_waitcnt lgkmcnt(3)
	v_lshrrev_b32_e32 v83, 16, v51
	v_mul_f16_sdwa v115, v0, v83 dst_sel:DWORD dst_unused:UNUSED_PAD src0_sel:WORD_1 src1_sel:DWORD
	v_lshrrev_b32_e32 v84, 16, v60
	v_fma_f16 v115, v0, v51, v115
	v_mul_f16_sdwa v51, v0, v51 dst_sel:DWORD dst_unused:UNUSED_PAD src0_sel:WORD_1 src1_sel:DWORD
	v_fma_f16 v0, v0, v83, -v51
	v_mul_f16_sdwa v51, v1, v84 dst_sel:DWORD dst_unused:UNUSED_PAD src0_sel:WORD_1 src1_sel:DWORD
	s_waitcnt lgkmcnt(2)
	v_lshrrev_b32_e32 v97, 16, v55
	v_fma_f16 v51, v1, v60, v51
	v_mul_f16_sdwa v60, v1, v60 dst_sel:DWORD dst_unused:UNUSED_PAD src0_sel:WORD_1 src1_sel:DWORD
	v_fma_f16 v1, v1, v84, -v60
	v_mul_f16_sdwa v60, v2, v97 dst_sel:DWORD dst_unused:UNUSED_PAD src0_sel:WORD_1 src1_sel:DWORD
	v_lshrrev_b32_e32 v98, 16, v62
	v_fma_f16 v60, v2, v55, v60
	v_mul_f16_sdwa v55, v2, v55 dst_sel:DWORD dst_unused:UNUSED_PAD src0_sel:WORD_1 src1_sel:DWORD
	v_fma_f16 v2, v2, v97, -v55
	v_mul_f16_sdwa v55, v3, v98 dst_sel:DWORD dst_unused:UNUSED_PAD src0_sel:WORD_1 src1_sel:DWORD
	;; [unrolled: 5-line block ×4, first 2 shown]
	s_waitcnt lgkmcnt(1)
	v_lshrrev_b32_e32 v108, 16, v56
	v_fma_f16 v58, v9, v61, v58
	v_mul_f16_sdwa v61, v9, v61 dst_sel:DWORD dst_unused:UNUSED_PAD src0_sel:WORD_1 src1_sel:DWORD
	v_fma_f16 v9, v9, v103, -v61
	v_mul_f16_sdwa v61, v10, v108 dst_sel:DWORD dst_unused:UNUSED_PAD src0_sel:WORD_1 src1_sel:DWORD
	v_lshrrev_b32_e32 v109, 16, v63
	v_fma_f16 v61, v10, v56, v61
	v_mul_f16_sdwa v56, v10, v56 dst_sel:DWORD dst_unused:UNUSED_PAD src0_sel:WORD_1 src1_sel:DWORD
	v_fma_f16 v10, v10, v108, -v56
	v_mul_f16_sdwa v56, v11, v109 dst_sel:DWORD dst_unused:UNUSED_PAD src0_sel:WORD_1 src1_sel:DWORD
	;; [unrolled: 5-line block ×5, first 2 shown]
	s_waitcnt lgkmcnt(0)
	v_lshrrev_b32_e32 v114, 16, v81
	v_fma_f16 v54, v14, v57, v54
	v_mul_f16_sdwa v57, v14, v57 dst_sel:DWORD dst_unused:UNUSED_PAD src0_sel:WORD_1 src1_sel:DWORD
	v_fma_f16 v14, v14, v113, -v57
	v_mul_f16_sdwa v57, v15, v114 dst_sel:DWORD dst_unused:UNUSED_PAD src0_sel:WORD_1 src1_sel:DWORD
	v_fma_f16 v57, v15, v81, v57
	v_mul_f16_sdwa v81, v15, v81 dst_sel:DWORD dst_unused:UNUSED_PAD src0_sel:WORD_1 src1_sel:DWORD
	v_fma_f16 v15, v15, v114, -v81
	v_mul_f16_sdwa v81, v16, v94 dst_sel:DWORD dst_unused:UNUSED_PAD src0_sel:WORD_1 src1_sel:DWORD
	v_mul_f16_sdwa v83, v16, v104 dst_sel:DWORD dst_unused:UNUSED_PAD src0_sel:WORD_1 src1_sel:DWORD
	v_fma_f16 v81, v16, v104, v81
	v_fma_f16 v16, v16, v94, -v83
	v_mul_f16_sdwa v83, v17, v95 dst_sel:DWORD dst_unused:UNUSED_PAD src0_sel:WORD_1 src1_sel:DWORD
	v_mul_f16_sdwa v84, v17, v106 dst_sel:DWORD dst_unused:UNUSED_PAD src0_sel:WORD_1 src1_sel:DWORD
	v_fma_f16 v83, v17, v106, v83
	;; [unrolled: 4-line block ×3, first 2 shown]
	v_fma_f16 v94, v18, v96, -v94
	v_mul_f16_sdwa v18, v19, v93 dst_sel:DWORD dst_unused:UNUSED_PAD src0_sel:WORD_1 src1_sel:DWORD
	v_fma_f16 v95, v19, v105, v18
	v_mul_f16_sdwa v18, v19, v105 dst_sel:DWORD dst_unused:UNUSED_PAD src0_sel:WORD_1 src1_sel:DWORD
	v_fma_f16 v93, v19, v93, -v18
	v_add_f16_e32 v18, v52, v115
	v_add_f16_e32 v18, v18, v51
	;; [unrolled: 1-line block ×5, first 2 shown]
	v_fma_f16 v18, v18, -0.5, v52
	v_sub_f16_e32 v19, v0, v3
	s_mov_b32 s3, 0xbb9c
	v_fma_f16 v97, v19, s3, v18
	v_sub_f16_e32 v98, v1, v2
	s_mov_b32 s2, 0xb8b4
	v_sub_f16_e32 v100, v115, v51
	v_sub_f16_e32 v103, v55, v60
	v_fma_f16 v18, v19, s5, v18
	v_fma_f16 v97, v98, s2, v97
	v_add_f16_e32 v100, v100, v103
	s_movk_i32 s4, 0x34f2
	v_fma_f16 v18, v98, s12, v18
	v_fma_f16 v97, v100, s4, v97
	v_fma_f16 v100, v100, s4, v18
	v_add_f16_e32 v18, v115, v55
	v_fma_f16 v18, v18, -0.5, v52
	v_lshrrev_b32_e32 v82, 16, v52
	v_fma_f16 v52, v98, s5, v18
	v_sub_f16_e32 v103, v51, v115
	v_sub_f16_e32 v104, v60, v55
	v_fma_f16 v18, v98, s3, v18
	v_add_f16_e32 v103, v103, v104
	v_fma_f16 v18, v19, s12, v18
	v_fma_f16 v98, v103, s4, v18
	v_add_f16_e32 v18, v82, v0
	v_add_f16_e32 v18, v18, v1
	v_fma_f16 v52, v19, s2, v52
	v_add_f16_e32 v18, v18, v2
	v_fma_f16 v104, v103, s4, v52
	v_add_f16_e32 v103, v18, v3
	v_add_f16_e32 v18, v1, v2
	v_fma_f16 v18, v18, -0.5, v82
	v_sub_f16_e32 v19, v115, v55
	v_fma_f16 v52, v19, s5, v18
	v_sub_f16_e32 v51, v51, v60
	v_sub_f16_e32 v55, v0, v1
	;; [unrolled: 1-line block ×3, first 2 shown]
	v_fma_f16 v18, v19, s3, v18
	v_add_f16_e32 v55, v55, v60
	v_fma_f16 v18, v51, s2, v18
	v_fma_f16 v105, v55, s4, v18
	v_add_f16_e32 v18, v0, v3
	v_fma_f16 v52, v51, s12, v52
	v_fma_f16 v18, v18, -0.5, v82
	v_fma_f16 v60, v55, s4, v52
	v_fma_f16 v52, v51, s3, v18
	v_sub_f16_e32 v0, v1, v0
	v_sub_f16_e32 v1, v2, v3
	v_add_f16_e32 v3, v58, v61
	v_fma_f16 v52, v19, s12, v52
	v_add_f16_e32 v0, v0, v1
	v_fma_f16 v2, v51, s5, v18
	v_fma_f16 v3, v3, -0.5, v53
	v_sub_f16_e32 v18, v8, v11
	v_fma_f16 v1, v0, s4, v52
	v_fma_f16 v2, v19, s2, v2
	;; [unrolled: 1-line block ×3, first 2 shown]
	v_sub_f16_e32 v51, v9, v10
	v_sub_f16_e32 v52, v62, v58
	;; [unrolled: 1-line block ×3, first 2 shown]
	v_fma_f16 v19, v51, s2, v19
	v_add_f16_e32 v52, v52, v55
	v_fma_f16 v82, v52, s4, v19
	v_fma_f16 v3, v18, s5, v3
	v_add_f16_e32 v19, v62, v56
	v_fma_f16 v3, v51, s12, v3
	v_fma_f16 v19, v19, -0.5, v53
	v_lshrrev_b32_e32 v99, 16, v53
	v_fma_f16 v0, v0, s4, v2
	v_add_f16_e32 v2, v53, v62
	v_fma_f16 v3, v52, s4, v3
	v_fma_f16 v52, v51, s5, v19
	v_sub_f16_e32 v53, v58, v62
	v_sub_f16_e32 v55, v61, v56
	v_fma_f16 v19, v51, s3, v19
	v_fma_f16 v52, v18, s2, v52
	v_add_f16_e32 v53, v53, v55
	v_fma_f16 v18, v18, s12, v19
	v_fma_f16 v107, v53, s4, v18
	v_add_f16_e32 v18, v99, v8
	v_add_f16_e32 v18, v18, v9
	;; [unrolled: 1-line block ×5, first 2 shown]
	v_fma_f16 v18, v18, -0.5, v99
	v_sub_f16_e32 v19, v62, v56
	v_fma_f16 v106, v53, s4, v52
	v_fma_f16 v51, v19, s5, v18
	v_sub_f16_e32 v52, v58, v61
	v_sub_f16_e32 v53, v8, v9
	;; [unrolled: 1-line block ×3, first 2 shown]
	v_fma_f16 v18, v19, s3, v18
	v_add_f16_e32 v2, v2, v58
	v_add_f16_e32 v53, v53, v55
	v_fma_f16 v18, v52, s2, v18
	v_add_f16_e32 v2, v2, v61
	v_fma_f16 v61, v53, s4, v18
	;; [unrolled: 2-line block ×3, first 2 shown]
	v_fma_f16 v18, v18, -0.5, v99
	v_fma_f16 v58, v53, s4, v51
	v_fma_f16 v51, v52, s3, v18
	v_sub_f16_e32 v8, v9, v8
	v_sub_f16_e32 v9, v10, v11
	v_add_f16_e32 v11, v59, v54
	v_fma_f16 v51, v19, s12, v51
	v_add_f16_e32 v8, v8, v9
	v_fma_f16 v10, v52, s5, v18
	v_fma_f16 v11, v11, -0.5, v50
	v_sub_f16_e32 v18, v12, v15
	v_fma_f16 v9, v8, s4, v51
	v_fma_f16 v10, v19, s2, v10
	;; [unrolled: 1-line block ×3, first 2 shown]
	v_sub_f16_e32 v51, v13, v14
	v_sub_f16_e32 v52, v63, v59
	;; [unrolled: 1-line block ×3, first 2 shown]
	v_fma_f16 v19, v51, s2, v19
	v_add_f16_e32 v52, v52, v53
	v_fma_f16 v62, v52, s4, v19
	v_fma_f16 v11, v18, s5, v11
	v_add_f16_e32 v19, v63, v57
	v_fma_f16 v11, v51, s12, v11
	v_fma_f16 v19, v19, -0.5, v50
	v_lshrrev_b32_e32 v110, 16, v50
	v_fma_f16 v8, v8, s4, v10
	v_add_f16_e32 v10, v50, v63
	v_fma_f16 v11, v52, s4, v11
	v_fma_f16 v50, v51, s5, v19
	v_sub_f16_e32 v52, v59, v63
	v_sub_f16_e32 v53, v54, v57
	v_fma_f16 v19, v51, s3, v19
	v_fma_f16 v50, v18, s2, v50
	v_add_f16_e32 v52, v52, v53
	v_fma_f16 v18, v18, s12, v19
	v_fma_f16 v109, v52, s4, v18
	v_add_f16_e32 v18, v110, v12
	v_add_f16_e32 v18, v18, v13
	;; [unrolled: 1-line block ×5, first 2 shown]
	v_fma_f16 v18, v18, -0.5, v110
	v_sub_f16_e32 v19, v63, v57
	v_fma_f16 v99, v52, s4, v50
	v_fma_f16 v50, v19, s5, v18
	v_sub_f16_e32 v51, v59, v54
	v_sub_f16_e32 v52, v12, v13
	;; [unrolled: 1-line block ×3, first 2 shown]
	v_fma_f16 v18, v19, s3, v18
	v_add_f16_e32 v52, v52, v53
	v_fma_f16 v18, v51, s2, v18
	v_fma_f16 v63, v52, s4, v18
	v_add_f16_e32 v18, v12, v15
	v_fma_f16 v50, v51, s12, v50
	v_fma_f16 v18, v18, -0.5, v110
	v_add_f16_e32 v10, v10, v59
	v_fma_f16 v59, v52, s4, v50
	v_fma_f16 v50, v51, s3, v18
	v_sub_f16_e32 v12, v13, v12
	v_sub_f16_e32 v13, v14, v15
	v_fma_f16 v14, v51, s5, v18
	v_fma_f16 v50, v19, s12, v50
	v_add_f16_e32 v12, v12, v13
	v_fma_f16 v14, v19, s2, v14
	v_fma_f16 v13, v12, s4, v50
	;; [unrolled: 1-line block ×3, first 2 shown]
	v_add_f16_e32 v14, v81, v101
	v_add_f16_e32 v14, v83, v14
	v_add_f16_e32 v14, v84, v14
	v_add_f16_e32 v18, v95, v14
	v_add_f16_e32 v14, v83, v84
	v_fma_f16 v14, v14, -0.5, v101
	v_sub_f16_e32 v15, v16, v93
	v_fma_f16 v19, v15, s3, v14
	v_sub_f16_e32 v50, v17, v94
	v_sub_f16_e32 v51, v81, v83
	;; [unrolled: 1-line block ×3, first 2 shown]
	v_fma_f16 v14, v15, s5, v14
	v_fma_f16 v19, v50, s2, v19
	v_add_f16_e32 v51, v51, v52
	v_fma_f16 v14, v50, s12, v14
	v_fma_f16 v19, v51, s4, v19
	;; [unrolled: 1-line block ×3, first 2 shown]
	v_add_f16_e32 v14, v81, v95
	v_fma_f16 v14, v14, -0.5, v101
	v_add_f16_e32 v10, v10, v54
	v_fma_f16 v52, v50, s5, v14
	v_sub_f16_e32 v53, v83, v81
	v_sub_f16_e32 v54, v84, v95
	v_fma_f16 v14, v50, s3, v14
	v_fma_f16 v52, v15, s2, v52
	v_add_f16_e32 v53, v53, v54
	v_fma_f16 v14, v15, s12, v14
	v_fma_f16 v52, v53, s4, v52
	;; [unrolled: 1-line block ×3, first 2 shown]
	v_add_f16_e32 v14, v16, v102
	v_add_f16_e32 v14, v17, v14
	;; [unrolled: 1-line block ×5, first 2 shown]
	v_fma_f16 v14, v14, -0.5, v102
	v_sub_f16_e32 v15, v81, v95
	v_add_f16_e32 v2, v2, v56
	v_add_f16_e32 v10, v10, v57
	v_fma_f16 v54, v15, s5, v14
	v_sub_f16_e32 v57, v83, v84
	v_sub_f16_e32 v55, v16, v17
	;; [unrolled: 1-line block ×3, first 2 shown]
	v_fma_f16 v14, v15, s3, v14
	v_fma_f16 v54, v57, s12, v54
	v_add_f16_e32 v56, v55, v56
	v_fma_f16 v14, v57, s2, v14
	v_fma_f16 v55, v56, s4, v54
	v_fma_f16 v54, v56, s4, v14
	v_add_f16_e32 v14, v16, v93
	v_fma_f16 v14, v14, -0.5, v102
	v_fma_f16 v56, v57, s3, v14
	v_sub_f16_e32 v16, v17, v16
	v_sub_f16_e32 v17, v94, v93
	v_fma_f16 v14, v57, s5, v14
	v_pack_b32_f16 v1, v104, v1
	v_pack_b32_f16 v0, v98, v0
	v_add_f16_e32 v16, v16, v17
	v_fma_f16 v14, v15, s2, v14
	s_barrier
	ds_write2_b32 v85, v1, v0 offset0:10 offset1:15
	v_pack_b32_f16 v0, v100, v105
	v_fma_f16 v56, v15, s12, v56
	v_fma_f16 v57, v16, s4, v14
	v_pack_b32_f16 v14, v96, v103
	v_pack_b32_f16 v15, v97, v60
	ds_write_b32 v85, v0 offset:80
	v_pack_b32_f16 v0, v2, v108
	v_pack_b32_f16 v1, v82, v58
	ds_write2_b32 v85, v14, v15 offset1:5
	ds_write2_b32 v86, v0, v1 offset1:5
	v_pack_b32_f16 v0, v106, v9
	v_pack_b32_f16 v1, v107, v8
	ds_write2_b32 v86, v0, v1 offset0:10 offset1:15
	v_pack_b32_f16 v0, v3, v61
	ds_write_b32 v86, v0 offset:80
	v_pack_b32_f16 v0, v10, v111
	v_pack_b32_f16 v1, v62, v59
	ds_write2_b32 v87, v0, v1 offset1:5
	v_pack_b32_f16 v0, v99, v13
	v_pack_b32_f16 v1, v109, v12
	v_fma_f16 v56, v16, s4, v56
	ds_write2_b32 v87, v0, v1 offset0:10 offset1:15
	v_pack_b32_f16 v0, v11, v63
	ds_write_b32 v87, v0 offset:80
	s_and_saveexec_b64 s[2:3], s[0:1]
	s_cbranch_execz .LBB0_25
; %bb.24:
	s_mov_b32 s4, 0x5040100
	v_lshlrev_b32_e32 v0, 2, v88
	v_perm_b32 v1, v50, v18, s4
	v_perm_b32 v2, v55, v19, s4
	ds_write2_b32 v0, v1, v2 offset1:5
	v_perm_b32 v1, v56, v52, s4
	v_perm_b32 v2, v57, v53, s4
	ds_write2_b32 v0, v1, v2 offset0:10 offset1:15
	v_perm_b32 v1, v54, v51, s4
	ds_write_b32 v0, v1 offset:80
.LBB0_25:
	s_or_b64 exec, exec, s[2:3]
	v_add_u32_e32 v10, 0x1800, v64
	s_waitcnt lgkmcnt(0)
	s_barrier
	v_add_u32_e32 v8, 0xc00, v64
	ds_read2_b32 v[16:17], v10 offset0:64 offset1:189
	v_add_u32_e32 v10, 0x800, v64
	v_add_u32_e32 v0, 0x300, v64
	ds_read2_b32 v[14:15], v8 offset0:32 offset1:157
	v_add_u32_e32 v8, 0x1000, v64
	ds_read2_b32 v[12:13], v10 offset0:13 offset1:138
	v_add_u32_e32 v10, 0x1400, v64
	ds_read2_b32 v[2:3], v64 offset1:125
	ds_read2_b32 v[0:1], v0 offset0:58 offset1:208
	ds_read2_b32 v[8:9], v8 offset0:26 offset1:176
	;; [unrolled: 1-line block ×3, first 2 shown]
	ds_read_b32 v58, v64 offset:7400
	s_and_saveexec_b64 s[2:3], s[0:1]
	s_cbranch_execz .LBB0_27
; %bb.26:
	ds_read_b32 v18, v64 offset:1500
	ds_read_b32 v19, v64 offset:3100
	;; [unrolled: 1-line block ×5, first 2 shown]
	s_waitcnt lgkmcnt(4)
	v_lshrrev_b32_e32 v50, 16, v18
	s_waitcnt lgkmcnt(3)
	v_lshrrev_b32_e32 v55, 16, v19
	;; [unrolled: 2-line block ×5, first 2 shown]
.LBB0_27:
	s_or_b64 exec, exec, s[2:3]
	s_waitcnt lgkmcnt(3)
	v_lshrrev_b32_e32 v60, 16, v1
	v_mul_f16_sdwa v95, v20, v60 dst_sel:DWORD dst_unused:UNUSED_PAD src0_sel:WORD_1 src1_sel:DWORD
	v_lshrrev_b32_e32 v61, 16, v14
	v_fma_f16 v95, v20, v1, v95
	v_mul_f16_sdwa v1, v20, v1 dst_sel:DWORD dst_unused:UNUSED_PAD src0_sel:WORD_1 src1_sel:DWORD
	v_fma_f16 v1, v20, v60, -v1
	v_mul_f16_sdwa v20, v21, v61 dst_sel:DWORD dst_unused:UNUSED_PAD src0_sel:WORD_1 src1_sel:DWORD
	s_waitcnt lgkmcnt(2)
	v_lshrrev_b32_e32 v62, 16, v9
	v_fma_f16 v20, v21, v14, v20
	v_mul_f16_sdwa v14, v21, v14 dst_sel:DWORD dst_unused:UNUSED_PAD src0_sel:WORD_1 src1_sel:DWORD
	v_fma_f16 v14, v21, v61, -v14
	v_mul_f16_sdwa v21, v22, v62 dst_sel:DWORD dst_unused:UNUSED_PAD src0_sel:WORD_1 src1_sel:DWORD
	v_lshrrev_b32_e32 v63, 16, v16
	v_fma_f16 v21, v22, v9, v21
	v_mul_f16_sdwa v9, v22, v9 dst_sel:DWORD dst_unused:UNUSED_PAD src0_sel:WORD_1 src1_sel:DWORD
	v_fma_f16 v9, v22, v62, -v9
	v_mul_f16_sdwa v22, v23, v63 dst_sel:DWORD dst_unused:UNUSED_PAD src0_sel:WORD_1 src1_sel:DWORD
	;; [unrolled: 5-line block ×4, first 2 shown]
	s_waitcnt lgkmcnt(1)
	v_lshrrev_b32_e32 v84, 16, v10
	v_fma_f16 v24, v25, v15, v24
	v_mul_f16_sdwa v15, v25, v15 dst_sel:DWORD dst_unused:UNUSED_PAD src0_sel:WORD_1 src1_sel:DWORD
	v_fma_f16 v15, v25, v83, -v15
	v_mul_f16_sdwa v25, v26, v84 dst_sel:DWORD dst_unused:UNUSED_PAD src0_sel:WORD_1 src1_sel:DWORD
	v_lshrrev_b32_e32 v85, 16, v17
	v_fma_f16 v25, v26, v10, v25
	v_mul_f16_sdwa v10, v26, v10 dst_sel:DWORD dst_unused:UNUSED_PAD src0_sel:WORD_1 src1_sel:DWORD
	v_fma_f16 v10, v26, v84, -v10
	v_mul_f16_sdwa v26, v27, v85 dst_sel:DWORD dst_unused:UNUSED_PAD src0_sel:WORD_1 src1_sel:DWORD
	;; [unrolled: 5-line block ×5, first 2 shown]
	v_add_f16_e32 v60, v20, v21
	s_waitcnt lgkmcnt(0)
	v_lshrrev_b32_e32 v94, 16, v58
	v_fma_f16 v29, v30, v11, v29
	v_mul_f16_sdwa v11, v30, v11 dst_sel:DWORD dst_unused:UNUSED_PAD src0_sel:WORD_1 src1_sel:DWORD
	v_fma_f16 v60, v60, -0.5, v2
	v_sub_f16_e32 v61, v1, v16
	s_mov_b32 s4, 0xbb9c
	s_movk_i32 s13, 0x3b9c
	v_fma_f16 v11, v30, v93, -v11
	v_mul_f16_sdwa v30, v31, v94 dst_sel:DWORD dst_unused:UNUSED_PAD src0_sel:WORD_1 src1_sel:DWORD
	v_fma_f16 v62, v61, s4, v60
	v_sub_f16_e32 v63, v14, v9
	s_mov_b32 s5, 0xb8b4
	v_sub_f16_e32 v82, v95, v20
	v_sub_f16_e32 v83, v22, v21
	v_fma_f16 v60, v61, s13, v60
	s_movk_i32 s14, 0x38b4
	v_fma_f16 v30, v31, v58, v30
	v_mul_f16_sdwa v58, v31, v58 dst_sel:DWORD dst_unused:UNUSED_PAD src0_sel:WORD_1 src1_sel:DWORD
	v_fma_f16 v62, v63, s5, v62
	v_add_f16_e32 v82, v82, v83
	s_movk_i32 s12, 0x34f2
	v_fma_f16 v60, v63, s14, v60
	v_fma_f16 v31, v31, v94, -v58
	v_add_f16_e32 v58, v2, v95
	v_fma_f16 v62, v82, s12, v62
	v_fma_f16 v60, v82, s12, v60
	v_add_f16_e32 v82, v95, v22
	v_lshrrev_b32_e32 v59, 16, v2
	v_add_f16_e32 v58, v58, v20
	v_fma_f16 v2, v82, -0.5, v2
	v_add_f16_e32 v58, v58, v21
	v_fma_f16 v82, v63, s13, v2
	v_sub_f16_e32 v83, v20, v95
	v_sub_f16_e32 v84, v21, v22
	v_fma_f16 v2, v63, s4, v2
	v_add_f16_e32 v63, v14, v9
	v_add_f16_e32 v58, v58, v22
	v_fma_f16 v82, v61, s5, v82
	v_add_f16_e32 v83, v83, v84
	v_fma_f16 v2, v61, s14, v2
	v_fma_f16 v63, v63, -0.5, v59
	v_sub_f16_e32 v22, v95, v22
	v_fma_f16 v82, v83, s12, v82
	v_fma_f16 v2, v83, s12, v2
	;; [unrolled: 1-line block ×3, first 2 shown]
	v_sub_f16_e32 v20, v20, v21
	v_fma_f16 v21, v20, s14, v83
	v_sub_f16_e32 v83, v1, v14
	v_sub_f16_e32 v84, v16, v9
	v_fma_f16 v63, v22, s4, v63
	v_add_f16_e32 v61, v59, v1
	v_add_f16_e32 v83, v83, v84
	v_fma_f16 v63, v20, s5, v63
	v_add_f16_e32 v61, v61, v14
	v_fma_f16 v21, v83, s12, v21
	v_fma_f16 v63, v83, s12, v63
	v_add_f16_e32 v83, v1, v16
	v_add_f16_e32 v61, v61, v9
	v_fma_f16 v59, v83, -0.5, v59
	v_add_f16_e32 v61, v61, v16
	v_fma_f16 v83, v20, s4, v59
	v_sub_f16_e32 v1, v14, v1
	v_sub_f16_e32 v9, v9, v16
	v_add_f16_e32 v16, v24, v25
	v_fma_f16 v83, v22, s14, v83
	v_add_f16_e32 v1, v1, v9
	v_fma_f16 v14, v20, s13, v59
	v_fma_f16 v16, v16, -0.5, v3
	v_sub_f16_e32 v20, v12, v17
	v_fma_f16 v9, v1, s12, v83
	v_fma_f16 v14, v22, s5, v14
	;; [unrolled: 1-line block ×3, first 2 shown]
	v_sub_f16_e32 v59, v15, v10
	v_sub_f16_e32 v83, v23, v24
	;; [unrolled: 1-line block ×3, first 2 shown]
	v_fma_f16 v16, v20, s13, v16
	v_fma_f16 v22, v59, s5, v22
	v_add_f16_e32 v83, v83, v84
	v_fma_f16 v16, v59, s14, v16
	v_fma_f16 v22, v83, s12, v22
	;; [unrolled: 1-line block ×3, first 2 shown]
	v_add_f16_e32 v83, v23, v26
	v_lshrrev_b32_e32 v81, 16, v3
	v_fma_f16 v1, v1, s12, v14
	v_add_f16_e32 v14, v3, v23
	v_fma_f16 v3, v83, -0.5, v3
	v_add_f16_e32 v14, v14, v24
	v_fma_f16 v83, v59, s13, v3
	v_fma_f16 v3, v59, s4, v3
	v_add_f16_e32 v59, v15, v10
	v_add_f16_e32 v14, v14, v25
	v_sub_f16_e32 v84, v24, v23
	v_sub_f16_e32 v85, v25, v26
	v_fma_f16 v59, v59, -0.5, v81
	v_sub_f16_e32 v23, v23, v26
	v_add_f16_e32 v14, v14, v26
	v_fma_f16 v83, v20, s5, v83
	v_add_f16_e32 v84, v84, v85
	v_fma_f16 v3, v20, s14, v3
	v_fma_f16 v26, v23, s13, v59
	v_sub_f16_e32 v24, v24, v25
	v_fma_f16 v83, v84, s12, v83
	v_fma_f16 v3, v84, s12, v3
	;; [unrolled: 1-line block ×3, first 2 shown]
	v_sub_f16_e32 v26, v12, v15
	v_sub_f16_e32 v84, v17, v10
	v_fma_f16 v59, v23, s4, v59
	v_add_f16_e32 v20, v81, v12
	v_add_f16_e32 v26, v26, v84
	v_fma_f16 v59, v24, s5, v59
	v_add_f16_e32 v20, v20, v15
	v_fma_f16 v25, v26, s12, v25
	v_fma_f16 v26, v26, s12, v59
	v_add_f16_e32 v59, v12, v17
	v_add_f16_e32 v20, v20, v10
	v_fma_f16 v59, v59, -0.5, v81
	v_add_f16_e32 v20, v20, v17
	v_fma_f16 v81, v24, s4, v59
	v_sub_f16_e32 v12, v15, v12
	v_sub_f16_e32 v10, v10, v17
	v_fma_f16 v15, v24, s13, v59
	v_add_f16_e32 v17, v28, v29
	v_fma_f16 v81, v23, s14, v81
	v_add_f16_e32 v10, v12, v10
	v_fma_f16 v15, v23, s5, v15
	v_fma_f16 v17, v17, -0.5, v0
	v_sub_f16_e32 v23, v13, v31
	v_fma_f16 v12, v10, s12, v81
	v_fma_f16 v24, v23, s4, v17
	v_sub_f16_e32 v59, v8, v11
	v_sub_f16_e32 v81, v27, v28
	;; [unrolled: 1-line block ×3, first 2 shown]
	v_fma_f16 v17, v23, s13, v17
	v_fma_f16 v24, v59, s5, v24
	v_add_f16_e32 v81, v81, v84
	v_fma_f16 v17, v59, s14, v17
	v_fma_f16 v24, v81, s12, v24
	;; [unrolled: 1-line block ×3, first 2 shown]
	v_add_f16_e32 v81, v27, v30
	v_lshrrev_b32_e32 v86, 16, v0
	v_fma_f16 v10, v10, s12, v15
	v_add_f16_e32 v15, v0, v27
	v_fma_f16 v0, v81, -0.5, v0
	v_add_f16_e32 v15, v15, v28
	v_fma_f16 v81, v59, s13, v0
	v_fma_f16 v0, v59, s4, v0
	v_add_f16_e32 v59, v8, v11
	v_add_f16_e32 v15, v15, v29
	v_sub_f16_e32 v84, v28, v27
	v_sub_f16_e32 v85, v29, v30
	v_fma_f16 v59, v59, -0.5, v86
	v_sub_f16_e32 v27, v27, v30
	v_add_f16_e32 v15, v15, v30
	v_fma_f16 v81, v23, s5, v81
	v_add_f16_e32 v84, v84, v85
	v_fma_f16 v0, v23, s14, v0
	v_fma_f16 v30, v27, s13, v59
	v_sub_f16_e32 v28, v28, v29
	v_fma_f16 v81, v84, s12, v81
	v_fma_f16 v0, v84, s12, v0
	;; [unrolled: 1-line block ×3, first 2 shown]
	v_sub_f16_e32 v30, v13, v8
	v_sub_f16_e32 v84, v31, v11
	v_fma_f16 v59, v27, s4, v59
	v_add_f16_e32 v30, v30, v84
	v_fma_f16 v59, v28, s5, v59
	v_add_f16_e32 v23, v86, v13
	v_fma_f16 v29, v30, s12, v29
	v_fma_f16 v30, v30, s12, v59
	v_add_f16_e32 v59, v13, v31
	v_add_f16_e32 v23, v23, v8
	v_fma_f16 v59, v59, -0.5, v86
	v_add_f16_e32 v23, v23, v11
	v_fma_f16 v84, v28, s4, v59
	v_sub_f16_e32 v8, v8, v13
	v_sub_f16_e32 v11, v11, v31
	v_fma_f16 v13, v28, s13, v59
	v_pack_b32_f16 v9, v82, v9
	v_pack_b32_f16 v1, v2, v1
	v_fma_f16 v84, v27, s14, v84
	v_add_f16_e32 v8, v8, v11
	v_fma_f16 v13, v27, s5, v13
	s_barrier
	ds_write2_b32 v90, v9, v1 offset0:50 offset1:75
	v_pack_b32_f16 v1, v60, v63
	v_fma_f16 v11, v8, s12, v84
	v_fma_f16 v8, v8, s12, v13
	v_pack_b32_f16 v13, v58, v61
	v_pack_b32_f16 v21, v62, v21
	ds_write_b32 v90, v1 offset:400
	v_pack_b32_f16 v1, v14, v20
	v_pack_b32_f16 v2, v22, v25
	ds_write2_b32 v90, v13, v21 offset1:25
	ds_write2_b32 v91, v1, v2 offset1:25
	v_pack_b32_f16 v1, v83, v12
	v_pack_b32_f16 v2, v3, v10
	v_add_f16_e32 v23, v23, v31
	ds_write2_b32 v91, v1, v2 offset0:50 offset1:75
	v_pack_b32_f16 v1, v16, v26
	ds_write_b32 v91, v1 offset:400
	v_pack_b32_f16 v1, v15, v23
	v_pack_b32_f16 v2, v24, v29
	ds_write2_b32 v92, v1, v2 offset1:25
	v_pack_b32_f16 v1, v81, v11
	v_pack_b32_f16 v0, v0, v8
	ds_write2_b32 v92, v1, v0 offset0:50 offset1:75
	v_pack_b32_f16 v0, v17, v30
	ds_write_b32 v92, v0 offset:400
	s_and_saveexec_b64 s[2:3], s[0:1]
	s_cbranch_execz .LBB0_29
; %bb.28:
	v_mul_f16_sdwa v2, v5, v52 dst_sel:DWORD dst_unused:UNUSED_PAD src0_sel:WORD_1 src1_sel:DWORD
	v_mul_f16_sdwa v10, v5, v56 dst_sel:DWORD dst_unused:UNUSED_PAD src0_sel:WORD_1 src1_sel:DWORD
	;; [unrolled: 1-line block ×4, first 2 shown]
	v_fma_f16 v2, v5, v56, -v2
	v_mul_f16_sdwa v3, v4, v19 dst_sel:DWORD dst_unused:UNUSED_PAD src0_sel:WORD_1 src1_sel:DWORD
	v_fma_f16 v5, v5, v52, v10
	v_mul_f16_sdwa v10, v6, v57 dst_sel:DWORD dst_unused:UNUSED_PAD src0_sel:WORD_1 src1_sel:DWORD
	v_fma_f16 v0, v7, v54, -v0
	v_fma_f16 v1, v6, v57, -v1
	;; [unrolled: 1-line block ×3, first 2 shown]
	v_fma_f16 v6, v6, v53, v10
	v_mul_f16_sdwa v10, v7, v54 dst_sel:DWORD dst_unused:UNUSED_PAD src0_sel:WORD_1 src1_sel:DWORD
	v_mul_f16_sdwa v9, v4, v55 dst_sel:DWORD dst_unused:UNUSED_PAD src0_sel:WORD_1 src1_sel:DWORD
	v_fma_f16 v7, v7, v51, v10
	v_sub_f16_e32 v10, v2, v3
	v_sub_f16_e32 v11, v1, v0
	v_add_f16_e32 v12, v3, v0
	v_fma_f16 v4, v4, v19, v9
	v_add_f16_e32 v10, v10, v11
	v_sub_f16_e32 v11, v5, v6
	v_fma_f16 v12, v12, -0.5, v50
	v_fma_f16 v13, v11, s13, v12
	v_sub_f16_e32 v14, v4, v7
	v_fma_f16 v12, v11, s4, v12
	v_fma_f16 v13, v14, s5, v13
	;; [unrolled: 1-line block ×5, first 2 shown]
	v_sub_f16_e32 v12, v3, v2
	v_sub_f16_e32 v15, v0, v1
	v_add_f16_e32 v8, v3, v50
	v_add_f16_e32 v12, v12, v15
	;; [unrolled: 1-line block ×4, first 2 shown]
	v_fma_f16 v15, v15, -0.5, v50
	v_add_f16_e32 v8, v1, v8
	v_fma_f16 v16, v14, s4, v15
	v_fma_f16 v14, v14, s13, v15
	v_add_f16_e32 v8, v0, v8
	v_add_f16_e32 v9, v4, v18
	v_fma_f16 v16, v11, s5, v16
	v_fma_f16 v11, v11, s14, v14
	v_sub_f16_e32 v0, v3, v0
	v_add_f16_e32 v3, v4, v7
	v_add_f16_e32 v9, v5, v9
	v_fma_f16 v16, v12, s12, v16
	v_fma_f16 v11, v12, s12, v11
	v_sub_f16_e32 v12, v5, v4
	v_fma_f16 v3, v3, -0.5, v18
	v_sub_f16_e32 v1, v2, v1
	v_sub_f16_e32 v4, v4, v5
	v_add_f16_e32 v5, v5, v6
	v_add_f16_e32 v9, v6, v9
	v_fma_f16 v2, v1, s4, v3
	v_fma_f16 v3, v1, s13, v3
	v_fma_f16 v5, v5, -0.5, v18
	v_add_f16_e32 v9, v7, v9
	v_sub_f16_e32 v14, v6, v7
	v_fma_f16 v2, v0, s14, v2
	v_fma_f16 v3, v0, s5, v3
	v_sub_f16_e32 v7, v7, v6
	v_fma_f16 v6, v0, s13, v5
	v_fma_f16 v0, v0, s4, v5
	v_add_f16_e32 v4, v4, v7
	v_fma_f16 v0, v1, s5, v0
	v_add_f16_e32 v12, v12, v14
	v_fma_f16 v6, v1, s14, v6
	v_fma_f16 v0, v4, s12, v0
	;; [unrolled: 1-line block ×5, first 2 shown]
	v_pack_b32_f16 v1, v9, v8
	v_pack_b32_f16 v0, v0, v11
	v_add_u32_e32 v4, 0x1c00, v89
	ds_write2_b32 v4, v1, v0 offset0:83 offset1:108
	v_pack_b32_f16 v0, v3, v10
	v_pack_b32_f16 v1, v2, v13
	ds_write2_b32 v4, v0, v1 offset0:133 offset1:158
	v_pack_b32_f16 v0, v6, v16
	ds_write_b32 v89, v0 offset:7900
.LBB0_29:
	s_or_b64 exec, exec, s[2:3]
	s_waitcnt lgkmcnt(0)
	s_barrier
	ds_read2_b32 v[0:1], v64 offset1:125
	v_add_u32_e32 v16, 0x200, v64
	ds_read2_b32 v[2:3], v16 offset0:122 offset1:247
	v_add_u32_e32 v21, 0x600, v64
	ds_read2_b32 v[4:5], v21 offset0:116 offset1:241
	s_waitcnt lgkmcnt(2)
	v_lshrrev_b32_e32 v18, 16, v1
	v_mul_f16_sdwa v57, v32, v18 dst_sel:DWORD dst_unused:UNUSED_PAD src0_sel:WORD_1 src1_sel:DWORD
	s_waitcnt lgkmcnt(1)
	v_lshrrev_b32_e32 v19, 16, v2
	v_fma_f16 v57, v32, v1, v57
	v_mul_f16_sdwa v1, v32, v1 dst_sel:DWORD dst_unused:UNUSED_PAD src0_sel:WORD_1 src1_sel:DWORD
	v_fma_f16 v1, v32, v18, -v1
	v_mul_f16_sdwa v18, v33, v19 dst_sel:DWORD dst_unused:UNUSED_PAD src0_sel:WORD_1 src1_sel:DWORD
	v_lshrrev_b32_e32 v20, 16, v3
	v_add_u32_e32 v22, 0xa00, v64
	v_fma_f16 v18, v33, v2, v18
	v_mul_f16_sdwa v2, v33, v2 dst_sel:DWORD dst_unused:UNUSED_PAD src0_sel:WORD_1 src1_sel:DWORD
	ds_read2_b32 v[6:7], v22 offset0:110 offset1:235
	v_fma_f16 v2, v33, v19, -v2
	v_mul_f16_sdwa v19, v34, v20 dst_sel:DWORD dst_unused:UNUSED_PAD src0_sel:WORD_1 src1_sel:DWORD
	s_waitcnt lgkmcnt(1)
	v_lshrrev_b32_e32 v24, 16, v4
	v_fma_f16 v19, v34, v3, v19
	v_mul_f16_sdwa v3, v34, v3 dst_sel:DWORD dst_unused:UNUSED_PAD src0_sel:WORD_1 src1_sel:DWORD
	v_fma_f16 v3, v34, v20, -v3
	v_mul_f16_sdwa v20, v35, v24 dst_sel:DWORD dst_unused:UNUSED_PAD src0_sel:WORD_1 src1_sel:DWORD
	v_add_u32_e32 v23, 0xe00, v64
	v_lshrrev_b32_e32 v25, 16, v5
	v_fma_f16 v20, v35, v4, v20
	v_mul_f16_sdwa v4, v35, v4 dst_sel:DWORD dst_unused:UNUSED_PAD src0_sel:WORD_1 src1_sel:DWORD
	ds_read2_b32 v[8:9], v23 offset0:104 offset1:229
	v_fma_f16 v4, v35, v24, -v4
	v_mul_f16_sdwa v24, v36, v25 dst_sel:DWORD dst_unused:UNUSED_PAD src0_sel:WORD_1 src1_sel:DWORD
	s_waitcnt lgkmcnt(1)
	v_lshrrev_b32_e32 v26, 16, v6
	v_fma_f16 v24, v36, v5, v24
	v_mul_f16_sdwa v5, v36, v5 dst_sel:DWORD dst_unused:UNUSED_PAD src0_sel:WORD_1 src1_sel:DWORD
	v_fma_f16 v5, v36, v25, -v5
	v_mul_f16_sdwa v25, v37, v26 dst_sel:DWORD dst_unused:UNUSED_PAD src0_sel:WORD_1 src1_sel:DWORD
	v_lshrrev_b32_e32 v27, 16, v7
	v_add_u32_e32 v30, 0x1200, v64
	v_add_u32_e32 v31, 0x1600, v64
	;; [unrolled: 1-line block ×3, first 2 shown]
	v_fma_f16 v25, v37, v6, v25
	v_mul_f16_sdwa v6, v37, v6 dst_sel:DWORD dst_unused:UNUSED_PAD src0_sel:WORD_1 src1_sel:DWORD
	ds_read2_b32 v[10:11], v30 offset0:98 offset1:223
	ds_read2_b32 v[12:13], v31 offset0:92 offset1:217
	ds_read2_b32 v[14:15], v50 offset0:86 offset1:211
	v_fma_f16 v6, v37, v26, -v6
	v_mul_f16_sdwa v26, v38, v27 dst_sel:DWORD dst_unused:UNUSED_PAD src0_sel:WORD_1 src1_sel:DWORD
	s_waitcnt lgkmcnt(3)
	v_lshrrev_b32_e32 v28, 16, v8
	v_fma_f16 v26, v38, v7, v26
	v_mul_f16_sdwa v7, v38, v7 dst_sel:DWORD dst_unused:UNUSED_PAD src0_sel:WORD_1 src1_sel:DWORD
	v_fma_f16 v7, v38, v27, -v7
	v_mul_f16_sdwa v27, v39, v28 dst_sel:DWORD dst_unused:UNUSED_PAD src0_sel:WORD_1 src1_sel:DWORD
	v_lshrrev_b32_e32 v29, 16, v9
	v_fma_f16 v27, v39, v8, v27
	v_mul_f16_sdwa v8, v39, v8 dst_sel:DWORD dst_unused:UNUSED_PAD src0_sel:WORD_1 src1_sel:DWORD
	v_fma_f16 v8, v39, v28, -v8
	v_mul_f16_sdwa v28, v40, v29 dst_sel:DWORD dst_unused:UNUSED_PAD src0_sel:WORD_1 src1_sel:DWORD
	s_waitcnt lgkmcnt(2)
	v_lshrrev_b32_e32 v51, 16, v10
	s_waitcnt lgkmcnt(1)
	v_lshrrev_b32_e32 v53, 16, v12
	;; [unrolled: 2-line block ×3, first 2 shown]
	v_fma_f16 v28, v40, v9, v28
	v_mul_f16_sdwa v9, v40, v9 dst_sel:DWORD dst_unused:UNUSED_PAD src0_sel:WORD_1 src1_sel:DWORD
	v_fma_f16 v9, v40, v29, -v9
	v_mul_f16_sdwa v29, v41, v51 dst_sel:DWORD dst_unused:UNUSED_PAD src0_sel:WORD_1 src1_sel:DWORD
	v_mul_f16_sdwa v33, v43, v53 dst_sel:DWORD dst_unused:UNUSED_PAD src0_sel:WORD_1 src1_sel:DWORD
	;; [unrolled: 1-line block ×3, first 2 shown]
	v_lshrrev_b32_e32 v52, 16, v11
	v_lshrrev_b32_e32 v54, 16, v13
	;; [unrolled: 1-line block ×3, first 2 shown]
	v_fma_f16 v29, v41, v10, v29
	v_mul_f16_sdwa v10, v41, v10 dst_sel:DWORD dst_unused:UNUSED_PAD src0_sel:WORD_1 src1_sel:DWORD
	v_fma_f16 v33, v43, v12, v33
	v_mul_f16_sdwa v12, v43, v12 dst_sel:DWORD dst_unused:UNUSED_PAD src0_sel:WORD_1 src1_sel:DWORD
	v_fma_f16 v35, v45, v14, v35
	v_mul_f16_sdwa v14, v45, v14 dst_sel:DWORD dst_unused:UNUSED_PAD src0_sel:WORD_1 src1_sel:DWORD
	v_lshrrev_b32_e32 v17, 16, v0
	v_fma_f16 v10, v41, v51, -v10
	v_mul_f16_sdwa v32, v42, v52 dst_sel:DWORD dst_unused:UNUSED_PAD src0_sel:WORD_1 src1_sel:DWORD
	v_fma_f16 v12, v43, v53, -v12
	v_mul_f16_sdwa v34, v44, v54 dst_sel:DWORD dst_unused:UNUSED_PAD src0_sel:WORD_1 src1_sel:DWORD
	;; [unrolled: 2-line block ×3, first 2 shown]
	v_fma_f16 v32, v42, v11, v32
	v_mul_f16_sdwa v11, v42, v11 dst_sel:DWORD dst_unused:UNUSED_PAD src0_sel:WORD_1 src1_sel:DWORD
	v_fma_f16 v34, v44, v13, v34
	v_mul_f16_sdwa v13, v44, v13 dst_sel:DWORD dst_unused:UNUSED_PAD src0_sel:WORD_1 src1_sel:DWORD
	;; [unrolled: 2-line block ×3, first 2 shown]
	v_sub_f16_e32 v27, v0, v27
	v_sub_f16_e32 v8, v17, v8
	;; [unrolled: 1-line block ×8, first 2 shown]
	v_fma_f16 v11, v42, v52, -v11
	v_fma_f16 v13, v44, v54, -v13
	;; [unrolled: 1-line block ×3, first 2 shown]
	v_fma_f16 v20, v20, 2.0, -v33
	v_fma_f16 v4, v4, 2.0, -v12
	;; [unrolled: 1-line block ×4, first 2 shown]
	v_add_f16_e32 v12, v27, v12
	v_sub_f16_e32 v33, v8, v33
	v_add_f16_e32 v14, v29, v14
	v_sub_f16_e32 v35, v10, v35
	v_fma_f16 v0, v0, 2.0, -v27
	v_fma_f16 v17, v17, 2.0, -v8
	;; [unrolled: 1-line block ×4, first 2 shown]
	v_sub_f16_e32 v28, v57, v28
	v_sub_f16_e32 v9, v1, v9
	;; [unrolled: 1-line block ×8, first 2 shown]
	v_fma_f16 v27, v27, 2.0, -v12
	v_fma_f16 v8, v8, 2.0, -v33
	;; [unrolled: 1-line block ×4, first 2 shown]
	s_mov_b32 s2, 0xb9a8
	v_fma_f16 v24, v24, 2.0, -v34
	v_fma_f16 v5, v5, 2.0, -v13
	;; [unrolled: 1-line block ×4, first 2 shown]
	v_add_f16_e32 v13, v28, v13
	v_sub_f16_e32 v34, v9, v34
	v_add_f16_e32 v15, v32, v15
	v_sub_f16_e32 v36, v11, v36
	v_fma_f16 v38, v29, s2, v27
	v_fma_f16 v39, v10, s2, v8
	s_movk_i32 s3, 0x39a8
	v_fma_f16 v37, v57, 2.0, -v28
	v_fma_f16 v1, v1, 2.0, -v9
	;; [unrolled: 1-line block ×8, first 2 shown]
	v_fma_f16 v10, v10, s3, v38
	v_fma_f16 v29, v29, s2, v39
	;; [unrolled: 1-line block ×8, first 2 shown]
	v_sub_f16_e32 v20, v0, v20
	v_sub_f16_e32 v4, v17, v4
	;; [unrolled: 1-line block ×8, first 2 shown]
	v_fma_f16 v11, v11, s3, v38
	v_fma_f16 v32, v32, s2, v39
	v_fma_f16 v18, v18, 2.0, -v25
	v_fma_f16 v2, v2, 2.0, -v6
	v_fma_f16 v19, v19, 2.0, -v26
	v_fma_f16 v3, v3, 2.0, -v7
	v_fma_f16 v27, v27, 2.0, -v10
	v_fma_f16 v8, v8, 2.0, -v29
	v_add_f16_e32 v6, v20, v6
	v_sub_f16_e32 v25, v4, v25
	v_fma_f16 v28, v28, 2.0, -v11
	v_fma_f16 v9, v9, 2.0, -v32
	v_add_f16_e32 v7, v24, v7
	v_sub_f16_e32 v26, v5, v26
	v_fma_f16 v38, v15, s3, v13
	v_fma_f16 v39, v36, s3, v34
	s_mov_b32 s4, 0xbb64
	v_fma_f16 v0, v0, 2.0, -v20
	v_fma_f16 v17, v17, 2.0, -v4
	;; [unrolled: 1-line block ×8, first 2 shown]
	v_fma_f16 v36, v36, s3, v38
	v_fma_f16 v15, v15, s2, v39
	;; [unrolled: 1-line block ×4, first 2 shown]
	s_movk_i32 s5, 0x361f
	s_mov_b32 s12, 0xb61f
	v_sub_f16_e32 v18, v0, v18
	v_sub_f16_e32 v2, v17, v2
	v_fma_f16 v12, v12, 2.0, -v35
	v_fma_f16 v33, v33, 2.0, -v14
	v_sub_f16_e32 v19, v37, v19
	v_sub_f16_e32 v3, v1, v3
	v_fma_f16 v13, v13, 2.0, -v36
	v_fma_f16 v34, v34, 2.0, -v15
	v_fma_f16 v9, v9, s5, v38
	v_fma_f16 v28, v28, s12, v39
	;; [unrolled: 1-line block ×4, first 2 shown]
	v_fma_f16 v0, v0, 2.0, -v18
	v_fma_f16 v17, v17, 2.0, -v2
	;; [unrolled: 1-line block ×4, first 2 shown]
	v_fma_f16 v5, v5, s3, v38
	v_fma_f16 v24, v24, s2, v39
	;; [unrolled: 1-line block ×4, first 2 shown]
	s_movk_i32 s13, 0x3b64
	v_sub_f16_e32 v37, v0, v37
	v_sub_f16_e32 v1, v17, v1
	v_fma_f16 v34, v34, s13, v38
	v_fma_f16 v13, v13, s4, v39
	;; [unrolled: 1-line block ×4, first 2 shown]
	v_fma_f16 v0, v0, 2.0, -v37
	v_fma_f16 v17, v17, 2.0, -v1
	;; [unrolled: 1-line block ×4, first 2 shown]
	v_fma_f16 v32, v32, s13, v38
	v_fma_f16 v11, v11, s4, v39
	;; [unrolled: 1-line block ×4, first 2 shown]
	v_fma_f16 v20, v20, 2.0, -v5
	v_fma_f16 v4, v4, 2.0, -v24
	;; [unrolled: 1-line block ×4, first 2 shown]
	v_add_f16_e32 v3, v18, v3
	v_sub_f16_e32 v19, v2, v19
	v_fma_f16 v26, v26, s3, v38
	v_fma_f16 v7, v7, s2, v39
	v_fma_f16 v38, v36, s13, v35
	v_fma_f16 v39, v15, s13, v14
	v_pack_b32_f16 v0, v0, v17
	v_pack_b32_f16 v8, v27, v8
	v_fma_f16 v18, v18, 2.0, -v3
	v_fma_f16 v2, v2, 2.0, -v19
	;; [unrolled: 1-line block ×4, first 2 shown]
	v_fma_f16 v15, v15, s5, v38
	v_fma_f16 v36, v36, s12, v39
	ds_write2_b32 v64, v0, v8 offset1:125
	v_pack_b32_f16 v0, v20, v4
	v_pack_b32_f16 v4, v12, v33
	v_fma_f16 v6, v6, 2.0, -v26
	v_fma_f16 v25, v25, 2.0, -v7
	;; [unrolled: 1-line block ×4, first 2 shown]
	ds_write2_b32 v16, v0, v4 offset0:122 offset1:247
	v_pack_b32_f16 v0, v18, v2
	v_pack_b32_f16 v2, v10, v29
	ds_write2_b32 v21, v0, v2 offset0:116 offset1:241
	v_pack_b32_f16 v0, v6, v25
	v_pack_b32_f16 v2, v35, v14
	;; [unrolled: 3-line block ×6, first 2 shown]
	ds_write2_b32 v50, v0, v1 offset0:86 offset1:211
	s_waitcnt lgkmcnt(0)
	s_barrier
	ds_read2_b32 v[2:3], v64 offset1:125
	s_mov_b32 s12, 0xd2f1a9fc
	s_mov_b32 s13, 0x3f40624d
	v_mad_u64_u32 v[4:5], s[2:3], s10, v49, 0
	s_waitcnt lgkmcnt(0)
	v_lshrrev_b32_e32 v7, 16, v2
	v_mul_f16_sdwa v0, v80, v7 dst_sel:DWORD dst_unused:UNUSED_PAD src0_sel:WORD_1 src1_sel:DWORD
	v_fma_f16 v0, v80, v2, v0
	v_cvt_f32_f16_e32 v0, v0
	s_movk_i32 s15, 0x1ff
	v_mad_u64_u32 v[5:6], s[2:3], s11, v49, v[5:6]
	v_cvt_f64_f32_e32 v[0:1], v0
	s_movk_i32 s10, 0xffe
	v_mul_f16_sdwa v2, v80, v2 dst_sel:DWORD dst_unused:UNUSED_PAD src0_sel:WORD_1 src1_sel:DWORD
	v_fma_f16 v2, v80, v7, -v2
	v_mul_f64 v[0:1], v[0:1], s[12:13]
	v_cvt_f32_f16_e32 v2, v2
	s_movk_i32 s11, 0x40f
	s_mov_b32 s14, 0x8000
	v_lshlrev_b64 v[4:5], 2, v[4:5]
	s_movk_i32 s16, 0x1000
	v_and_or_b32 v0, v1, s15, v0
	v_cmp_ne_u32_e32 vcc, 0, v0
	v_cndmask_b32_e64 v0, 0, 1, vcc
	v_lshrrev_b32_e32 v6, 8, v1
	v_bfe_u32 v8, v1, 20, 11
	v_and_or_b32 v0, v6, s10, v0
	v_sub_u32_e32 v9, 0x3f1, v8
	v_or_b32_e32 v6, 0x1000, v0
	v_med3_i32 v9, v9, 0, 13
	v_lshrrev_b32_e32 v10, v9, v6
	v_lshlrev_b32_e32 v9, v9, v10
	v_cmp_ne_u32_e32 vcc, v9, v6
	v_cndmask_b32_e64 v6, 0, 1, vcc
	v_add_u32_e32 v9, 0xfffffc10, v8
	v_or_b32_e32 v6, v10, v6
	v_lshl_or_b32 v8, v9, 12, v0
	v_cmp_gt_i32_e32 vcc, 1, v9
	v_cndmask_b32_e32 v6, v8, v6, vcc
	v_and_b32_e32 v8, 7, v6
	v_cmp_lt_i32_e32 vcc, 5, v8
	v_cmp_eq_u32_e64 s[2:3], 3, v8
	v_lshrrev_b32_e32 v6, 2, v6
	s_or_b64 vcc, s[2:3], vcc
	v_addc_co_u32_e32 v10, vcc, 0, v6, vcc
	v_cvt_f64_f32_e32 v[6:7], v2
	v_mov_b32_e32 v8, 0x7c00
	v_cmp_gt_i32_e32 vcc, 31, v9
	v_cndmask_b32_e32 v2, v8, v10, vcc
	v_mul_f64 v[6:7], v[6:7], s[12:13]
	v_cmp_ne_u32_e32 vcc, 0, v0
	v_cndmask_b32_e64 v0, 0, 1, vcc
	v_lshl_or_b32 v0, v0, 9, v8
	v_cmp_eq_u32_e32 vcc, s11, v9
	v_cndmask_b32_e32 v0, v2, v0, vcc
	v_lshrrev_b32_e32 v1, 16, v1
	v_and_or_b32 v11, v1, s14, v0
	v_and_or_b32 v0, v7, s15, v6
	v_cmp_ne_u32_e32 vcc, 0, v0
	v_cndmask_b32_e64 v0, 0, 1, vcc
	v_lshrrev_b32_e32 v1, 8, v7
	v_bfe_u32 v2, v7, 20, 11
	v_and_or_b32 v0, v1, s10, v0
	v_sub_u32_e32 v6, 0x3f1, v2
	v_or_b32_e32 v1, 0x1000, v0
	v_med3_i32 v6, v6, 0, 13
	v_lshrrev_b32_e32 v9, v6, v1
	v_lshlrev_b32_e32 v6, v6, v9
	v_cmp_ne_u32_e32 vcc, v6, v1
	v_cndmask_b32_e64 v1, 0, 1, vcc
	v_add_u32_e32 v2, 0xfffffc10, v2
	v_or_b32_e32 v1, v9, v1
	v_lshl_or_b32 v6, v2, 12, v0
	v_cmp_gt_i32_e32 vcc, 1, v2
	v_cndmask_b32_e32 v1, v6, v1, vcc
	v_and_b32_e32 v6, 7, v1
	v_cmp_lt_i32_e32 vcc, 5, v6
	v_cmp_eq_u32_e64 s[2:3], 3, v6
	v_lshrrev_b32_e32 v1, 2, v1
	s_or_b64 vcc, s[2:3], vcc
	v_addc_co_u32_e32 v1, vcc, 0, v1, vcc
	v_cmp_gt_i32_e32 vcc, 31, v2
	v_cndmask_b32_e32 v1, v8, v1, vcc
	v_cmp_ne_u32_e32 vcc, 0, v0
	v_cndmask_b32_e64 v0, 0, 1, vcc
	v_lshl_or_b32 v0, v0, 9, v8
	v_cmp_eq_u32_e32 vcc, s11, v2
	v_cndmask_b32_e32 v12, v1, v0, vcc
	v_add_u32_e32 v0, 0x300, v64
	v_mad_u64_u32 v[9:10], s[2:3], s8, v78, 0
	ds_read2_b32 v[0:1], v0 offset0:58 offset1:208
	v_lshrrev_b32_e32 v13, 16, v7
	v_mov_b32_e32 v2, v10
	v_mad_u64_u32 v[6:7], s[2:3], s9, v78, v[2:3]
	s_waitcnt lgkmcnt(0)
	v_lshrrev_b32_e32 v2, 16, v1
	v_mul_f16_sdwa v7, v79, v2 dst_sel:DWORD dst_unused:UNUSED_PAD src0_sel:WORD_1 src1_sel:DWORD
	v_fma_f16 v7, v79, v1, v7
	v_cvt_f32_f16_e32 v7, v7
	v_mov_b32_e32 v10, v6
	v_and_or_b32 v12, v13, s14, v12
	v_and_b32_e32 v11, 0xffff, v11
	v_cvt_f64_f32_e32 v[6:7], v7
	v_lshl_or_b32 v12, v12, 16, v11
	v_mov_b32_e32 v11, s7
	v_add_co_u32_e32 v13, vcc, s6, v4
	v_mul_f64 v[6:7], v[6:7], s[12:13]
	v_addc_co_u32_e32 v11, vcc, v11, v5, vcc
	v_lshlrev_b64 v[4:5], 2, v[9:10]
	v_mul_f16_sdwa v1, v79, v1 dst_sel:DWORD dst_unused:UNUSED_PAD src0_sel:WORD_1 src1_sel:DWORD
	v_add_co_u32_e32 v10, vcc, v13, v4
	v_addc_co_u32_e32 v11, vcc, v11, v5, vcc
	v_and_or_b32 v4, v7, s15, v6
	v_cmp_ne_u32_e32 vcc, 0, v4
	v_fma_f16 v1, v79, v2, -v1
	v_cndmask_b32_e64 v4, 0, 1, vcc
	v_lshrrev_b32_e32 v5, 8, v7
	v_bfe_u32 v6, v7, 20, 11
	v_cvt_f32_f16_e32 v1, v1
	v_and_or_b32 v4, v5, s10, v4
	v_sub_u32_e32 v9, 0x3f1, v6
	v_or_b32_e32 v5, 0x1000, v4
	v_med3_i32 v9, v9, 0, 13
	global_store_dword v[10:11], v12, off
	v_lshrrev_b32_e32 v12, v9, v5
	v_lshlrev_b32_e32 v9, v9, v12
	v_cvt_f64_f32_e32 v[1:2], v1
	v_cmp_ne_u32_e32 vcc, v9, v5
	v_cndmask_b32_e64 v5, 0, 1, vcc
	v_add_u32_e32 v6, 0xfffffc10, v6
	v_or_b32_e32 v5, v12, v5
	v_lshl_or_b32 v9, v6, 12, v4
	v_cmp_gt_i32_e32 vcc, 1, v6
	v_cndmask_b32_e32 v5, v9, v5, vcc
	v_mul_f64 v[1:2], v[1:2], s[12:13]
	v_and_b32_e32 v9, 7, v5
	v_cmp_lt_i32_e32 vcc, 5, v9
	v_cmp_eq_u32_e64 s[2:3], 3, v9
	v_lshrrev_b32_e32 v5, 2, v5
	s_or_b64 vcc, s[2:3], vcc
	v_addc_co_u32_e32 v5, vcc, 0, v5, vcc
	v_cmp_gt_i32_e32 vcc, 31, v6
	v_cndmask_b32_e32 v5, v8, v5, vcc
	v_cmp_ne_u32_e32 vcc, 0, v4
	v_cndmask_b32_e64 v4, 0, 1, vcc
	v_lshl_or_b32 v4, v4, 9, v8
	v_cmp_eq_u32_e32 vcc, s11, v6
	v_and_or_b32 v1, v2, s15, v1
	v_cndmask_b32_e32 v4, v5, v4, vcc
	v_lshrrev_b32_e32 v5, 16, v7
	v_cmp_ne_u32_e32 vcc, 0, v1
	v_and_or_b32 v6, v5, s14, v4
	v_cndmask_b32_e64 v1, 0, 1, vcc
	v_lshrrev_b32_e32 v4, 8, v2
	v_bfe_u32 v5, v2, 20, 11
	v_and_or_b32 v1, v4, s10, v1
	v_sub_u32_e32 v7, 0x3f1, v5
	v_or_b32_e32 v4, 0x1000, v1
	v_med3_i32 v7, v7, 0, 13
	v_lshrrev_b32_e32 v9, v7, v4
	v_lshlrev_b32_e32 v7, v7, v9
	v_cmp_ne_u32_e32 vcc, v7, v4
	v_cndmask_b32_e64 v4, 0, 1, vcc
	v_add_u32_e32 v7, 0xfffffc10, v5
	v_or_b32_e32 v4, v9, v4
	v_lshl_or_b32 v5, v7, 12, v1
	v_cmp_gt_i32_e32 vcc, 1, v7
	v_cndmask_b32_e32 v4, v5, v4, vcc
	v_and_b32_e32 v5, 7, v4
	v_cmp_lt_i32_e32 vcc, 5, v5
	v_cmp_eq_u32_e64 s[2:3], 3, v5
	v_lshrrev_b32_e32 v4, 2, v4
	s_or_b64 vcc, s[2:3], vcc
	v_addc_co_u32_e32 v4, vcc, 0, v4, vcc
	v_cmp_gt_i32_e32 vcc, 31, v7
	v_cndmask_b32_e32 v9, v8, v4, vcc
	v_add_u32_e32 v4, 0xc00, v64
	ds_read2_b32 v[4:5], v4 offset0:32 offset1:157
	v_cmp_ne_u32_e32 vcc, 0, v1
	v_cndmask_b32_e64 v1, 0, 1, vcc
	v_lshl_or_b32 v1, v1, 9, v8
	v_cmp_eq_u32_e32 vcc, s11, v7
	v_cndmask_b32_e32 v1, v9, v1, vcc
	v_lshrrev_b32_e32 v2, 16, v2
	s_waitcnt lgkmcnt(0)
	v_lshrrev_b32_e32 v12, 16, v4
	v_and_or_b32 v7, v2, s14, v1
	v_mul_f16_sdwa v1, v77, v12 dst_sel:DWORD dst_unused:UNUSED_PAD src0_sel:WORD_1 src1_sel:DWORD
	v_fma_f16 v1, v77, v4, v1
	v_cvt_f32_f16_e32 v1, v1
	s_mul_i32 s2, s9, 0x190
	s_mul_hi_u32 s3, s8, 0x190
	s_add_i32 s3, s3, s2
	v_cvt_f64_f32_e32 v[1:2], v1
	s_mul_i32 s2, s8, 0x190
	v_and_b32_e32 v6, 0xffff, v6
	s_lshl_b64 s[6:7], s[2:3], 2
	v_mul_f64 v[1:2], v[1:2], s[12:13]
	v_lshl_or_b32 v13, v7, 16, v6
	v_mov_b32_e32 v9, s7
	v_add_co_u32_e32 v6, vcc, s6, v10
	v_addc_co_u32_e32 v7, vcc, v11, v9, vcc
	global_store_dword v[6:7], v13, off
	v_and_or_b32 v1, v2, s15, v1
	v_cmp_ne_u32_e32 vcc, 0, v1
	v_cndmask_b32_e64 v1, 0, 1, vcc
	v_lshrrev_b32_e32 v10, 8, v2
	v_bfe_u32 v11, v2, 20, 11
	v_and_or_b32 v1, v10, s10, v1
	v_sub_u32_e32 v13, 0x3f1, v11
	v_or_b32_e32 v10, 0x1000, v1
	v_med3_i32 v13, v13, 0, 13
	v_lshrrev_b32_e32 v14, v13, v10
	v_lshlrev_b32_e32 v13, v13, v14
	v_mul_f16_sdwa v4, v77, v4 dst_sel:DWORD dst_unused:UNUSED_PAD src0_sel:WORD_1 src1_sel:DWORD
	v_cmp_ne_u32_e32 vcc, v13, v10
	v_fma_f16 v4, v77, v12, -v4
	v_cndmask_b32_e64 v10, 0, 1, vcc
	v_add_u32_e32 v13, 0xfffffc10, v11
	v_cvt_f32_f16_e32 v4, v4
	v_or_b32_e32 v10, v14, v10
	v_lshl_or_b32 v11, v13, 12, v1
	v_cmp_gt_i32_e32 vcc, 1, v13
	v_cndmask_b32_e32 v10, v11, v10, vcc
	v_and_b32_e32 v11, 7, v10
	v_cmp_lt_i32_e32 vcc, 5, v11
	v_cmp_eq_u32_e64 s[2:3], 3, v11
	v_lshrrev_b32_e32 v12, 2, v10
	v_cvt_f64_f32_e32 v[10:11], v4
	s_or_b64 vcc, s[2:3], vcc
	v_addc_co_u32_e32 v4, vcc, 0, v12, vcc
	v_mul_f64 v[10:11], v[10:11], s[12:13]
	v_cmp_gt_i32_e32 vcc, 31, v13
	v_cndmask_b32_e32 v4, v8, v4, vcc
	v_cmp_ne_u32_e32 vcc, 0, v1
	v_cndmask_b32_e64 v1, 0, 1, vcc
	v_lshl_or_b32 v1, v1, 9, v8
	v_cmp_eq_u32_e32 vcc, s11, v13
	v_cndmask_b32_e32 v1, v4, v1, vcc
	v_lshrrev_b32_e32 v2, 16, v2
	v_and_or_b32 v4, v2, s14, v1
	v_and_or_b32 v1, v11, s15, v10
	v_cmp_ne_u32_e32 vcc, 0, v1
	v_cndmask_b32_e64 v1, 0, 1, vcc
	v_lshrrev_b32_e32 v2, 8, v11
	v_and_or_b32 v10, v2, s10, v1
	v_bfe_u32 v2, v11, 20, 11
	v_sub_u32_e32 v12, 0x3f1, v2
	v_or_b32_e32 v1, 0x1000, v10
	v_med3_i32 v12, v12, 0, 13
	v_lshrrev_b32_e32 v13, v12, v1
	v_lshlrev_b32_e32 v12, v12, v13
	v_cmp_ne_u32_e32 vcc, v12, v1
	v_cndmask_b32_e64 v1, 0, 1, vcc
	v_add_u32_e32 v14, 0xfffffc10, v2
	v_or_b32_e32 v1, v13, v1
	v_lshl_or_b32 v2, v14, 12, v10
	v_cmp_gt_i32_e32 vcc, 1, v14
	v_cndmask_b32_e32 v1, v2, v1, vcc
	v_and_b32_e32 v2, 7, v1
	v_lshrrev_b32_e32 v12, 2, v1
	v_add_u32_e32 v1, 0x1000, v64
	v_cmp_lt_i32_e32 vcc, 5, v2
	v_cmp_eq_u32_e64 s[2:3], 3, v2
	ds_read2_b32 v[1:2], v1 offset0:26 offset1:176
	s_or_b64 vcc, s[2:3], vcc
	v_addc_co_u32_e32 v12, vcc, 0, v12, vcc
	v_cmp_gt_i32_e32 vcc, 31, v14
	s_waitcnt lgkmcnt(0)
	v_lshrrev_b32_e32 v16, 16, v2
	v_cndmask_b32_e32 v15, v8, v12, vcc
	v_mul_f16_sdwa v12, v76, v16 dst_sel:DWORD dst_unused:UNUSED_PAD src0_sel:WORD_1 src1_sel:DWORD
	v_fma_f16 v12, v76, v2, v12
	v_cvt_f32_f16_e32 v12, v12
	v_cmp_ne_u32_e32 vcc, 0, v10
	v_cndmask_b32_e64 v10, 0, 1, vcc
	v_lshl_or_b32 v10, v10, 9, v8
	v_cvt_f64_f32_e32 v[12:13], v12
	v_cmp_eq_u32_e32 vcc, s11, v14
	v_cndmask_b32_e32 v10, v15, v10, vcc
	v_lshrrev_b32_e32 v11, 16, v11
	v_and_or_b32 v14, v11, s14, v10
	v_mul_f64 v[10:11], v[12:13], s[12:13]
	v_and_b32_e32 v4, 0xffff, v4
	v_add_co_u32_e32 v12, vcc, s6, v6
	v_lshl_or_b32 v4, v14, 16, v4
	v_addc_co_u32_e32 v13, vcc, v7, v9, vcc
	global_store_dword v[12:13], v4, off
	v_and_or_b32 v4, v11, s15, v10
	v_cmp_ne_u32_e32 vcc, 0, v4
	v_cndmask_b32_e64 v4, 0, 1, vcc
	v_lshrrev_b32_e32 v6, 8, v11
	v_bfe_u32 v7, v11, 20, 11
	v_and_or_b32 v4, v6, s10, v4
	v_sub_u32_e32 v10, 0x3f1, v7
	v_or_b32_e32 v6, 0x1000, v4
	v_med3_i32 v10, v10, 0, 13
	v_lshrrev_b32_e32 v14, v10, v6
	v_lshlrev_b32_e32 v10, v10, v14
	v_mul_f16_sdwa v2, v76, v2 dst_sel:DWORD dst_unused:UNUSED_PAD src0_sel:WORD_1 src1_sel:DWORD
	v_cmp_ne_u32_e32 vcc, v10, v6
	v_fma_f16 v2, v76, v16, -v2
	v_cndmask_b32_e64 v6, 0, 1, vcc
	v_add_u32_e32 v10, 0xfffffc10, v7
	v_cvt_f32_f16_e32 v2, v2
	v_or_b32_e32 v6, v14, v6
	v_lshl_or_b32 v7, v10, 12, v4
	v_cmp_gt_i32_e32 vcc, 1, v10
	v_cndmask_b32_e32 v6, v7, v6, vcc
	v_and_b32_e32 v7, 7, v6
	v_cmp_lt_i32_e32 vcc, 5, v7
	v_cmp_eq_u32_e64 s[2:3], 3, v7
	v_lshrrev_b32_e32 v14, 2, v6
	v_cvt_f64_f32_e32 v[6:7], v2
	s_or_b64 vcc, s[2:3], vcc
	v_addc_co_u32_e32 v2, vcc, 0, v14, vcc
	v_mul_f64 v[14:15], v[6:7], s[12:13]
	v_cmp_gt_i32_e32 vcc, 31, v10
	v_cndmask_b32_e32 v2, v8, v2, vcc
	v_cmp_ne_u32_e32 vcc, 0, v4
	v_cndmask_b32_e64 v4, 0, 1, vcc
	v_lshl_or_b32 v4, v4, 9, v8
	v_cmp_eq_u32_e32 vcc, s11, v10
	v_cndmask_b32_e32 v2, v2, v4, vcc
	v_lshrrev_b32_e32 v4, 16, v11
	v_and_or_b32 v2, v4, s14, v2
	v_and_or_b32 v4, v15, s15, v14
	v_cmp_ne_u32_e32 vcc, 0, v4
	v_cndmask_b32_e64 v4, 0, 1, vcc
	v_lshrrev_b32_e32 v6, 8, v15
	v_bfe_u32 v7, v15, 20, 11
	v_and_or_b32 v4, v6, s10, v4
	v_sub_u32_e32 v10, 0x3f1, v7
	v_or_b32_e32 v6, 0x1000, v4
	v_med3_i32 v10, v10, 0, 13
	v_lshrrev_b32_e32 v11, v10, v6
	v_lshlrev_b32_e32 v10, v10, v11
	v_cmp_ne_u32_e32 vcc, v10, v6
	v_cndmask_b32_e64 v6, 0, 1, vcc
	v_add_u32_e32 v14, 0xfffffc10, v7
	v_or_b32_e32 v6, v11, v6
	v_lshl_or_b32 v7, v14, 12, v4
	v_cmp_gt_i32_e32 vcc, 1, v14
	v_cndmask_b32_e32 v6, v7, v6, vcc
	v_and_b32_e32 v7, 7, v6
	v_lshrrev_b32_e32 v10, 2, v6
	v_add_u32_e32 v6, 0x1800, v64
	v_cmp_lt_i32_e32 vcc, 5, v7
	v_cmp_eq_u32_e64 s[2:3], 3, v7
	ds_read2_b32 v[6:7], v6 offset0:64 offset1:189
	s_or_b64 vcc, s[2:3], vcc
	v_addc_co_u32_e32 v10, vcc, 0, v10, vcc
	v_cmp_gt_i32_e32 vcc, 31, v14
	s_waitcnt lgkmcnt(0)
	v_lshrrev_b32_e32 v17, 16, v6
	v_cndmask_b32_e32 v16, v8, v10, vcc
	v_mul_f16_sdwa v10, v75, v17 dst_sel:DWORD dst_unused:UNUSED_PAD src0_sel:WORD_1 src1_sel:DWORD
	v_fma_f16 v10, v75, v6, v10
	v_cvt_f32_f16_e32 v10, v10
	v_cmp_ne_u32_e32 vcc, 0, v4
	v_cndmask_b32_e64 v4, 0, 1, vcc
	v_lshl_or_b32 v4, v4, 9, v8
	v_cvt_f64_f32_e32 v[10:11], v10
	v_cmp_eq_u32_e32 vcc, s11, v14
	v_cndmask_b32_e32 v4, v16, v4, vcc
	v_lshrrev_b32_e32 v14, 16, v15
	v_mul_f64 v[10:11], v[10:11], s[12:13]
	v_and_or_b32 v4, v14, s14, v4
	v_and_b32_e32 v2, 0xffff, v2
	v_add_co_u32_e32 v12, vcc, s6, v12
	v_lshl_or_b32 v2, v4, 16, v2
	v_addc_co_u32_e32 v13, vcc, v13, v9, vcc
	global_store_dword v[12:13], v2, off
	v_and_or_b32 v2, v11, s15, v10
	v_cmp_ne_u32_e32 vcc, 0, v2
	v_cndmask_b32_e64 v2, 0, 1, vcc
	v_lshrrev_b32_e32 v4, 8, v11
	v_bfe_u32 v10, v11, 20, 11
	v_and_or_b32 v2, v4, s10, v2
	v_sub_u32_e32 v14, 0x3f1, v10
	v_or_b32_e32 v4, 0x1000, v2
	v_med3_i32 v14, v14, 0, 13
	v_lshrrev_b32_e32 v15, v14, v4
	v_lshlrev_b32_e32 v14, v14, v15
	v_mul_f16_sdwa v6, v75, v6 dst_sel:DWORD dst_unused:UNUSED_PAD src0_sel:WORD_1 src1_sel:DWORD
	v_cmp_ne_u32_e32 vcc, v14, v4
	v_fma_f16 v6, v75, v17, -v6
	v_cndmask_b32_e64 v4, 0, 1, vcc
	v_add_u32_e32 v10, 0xfffffc10, v10
	v_cvt_f32_f16_e32 v6, v6
	v_or_b32_e32 v4, v15, v4
	v_lshl_or_b32 v14, v10, 12, v2
	v_cmp_gt_i32_e32 vcc, 1, v10
	v_cndmask_b32_e32 v4, v14, v4, vcc
	v_and_b32_e32 v14, 7, v4
	v_cmp_lt_i32_e32 vcc, 5, v14
	v_cmp_eq_u32_e64 s[2:3], 3, v14
	v_cvt_f64_f32_e32 v[14:15], v6
	v_lshrrev_b32_e32 v4, 2, v4
	s_or_b64 vcc, s[2:3], vcc
	v_addc_co_u32_e32 v4, vcc, 0, v4, vcc
	v_mul_f64 v[14:15], v[14:15], s[12:13]
	v_cmp_gt_i32_e32 vcc, 31, v10
	v_cndmask_b32_e32 v4, v8, v4, vcc
	v_cmp_ne_u32_e32 vcc, 0, v2
	v_cndmask_b32_e64 v2, 0, 1, vcc
	v_lshl_or_b32 v2, v2, 9, v8
	v_cmp_eq_u32_e32 vcc, s11, v10
	v_cndmask_b32_e32 v2, v4, v2, vcc
	v_lshrrev_b32_e32 v4, 16, v11
	v_and_or_b32 v2, v4, s14, v2
	v_and_or_b32 v4, v15, s15, v14
	v_cmp_ne_u32_e32 vcc, 0, v4
	v_cndmask_b32_e64 v4, 0, 1, vcc
	v_lshrrev_b32_e32 v6, 8, v15
	v_bfe_u32 v10, v15, 20, 11
	v_and_or_b32 v4, v6, s10, v4
	v_sub_u32_e32 v11, 0x3f1, v10
	v_or_b32_e32 v6, 0x1000, v4
	v_med3_i32 v11, v11, 0, 13
	v_lshrrev_b32_e32 v14, v11, v6
	v_lshlrev_b32_e32 v11, v11, v14
	v_cmp_ne_u32_e32 vcc, v11, v6
	v_cndmask_b32_e64 v6, 0, 1, vcc
	v_or_b32_e32 v6, v14, v6
	v_add_u32_e32 v14, 0xfffffc10, v10
	v_lshl_or_b32 v10, v14, 12, v4
	v_cmp_gt_i32_e32 vcc, 1, v14
	v_cndmask_b32_e32 v6, v10, v6, vcc
	v_and_b32_e32 v10, 7, v6
	v_lshrrev_b32_e32 v16, 16, v3
	v_cmp_lt_i32_e32 vcc, 5, v10
	v_cmp_eq_u32_e64 s[2:3], 3, v10
	v_mul_f16_sdwa v10, v74, v16 dst_sel:DWORD dst_unused:UNUSED_PAD src0_sel:WORD_1 src1_sel:DWORD
	v_fma_f16 v10, v74, v3, v10
	v_cvt_f32_f16_e32 v10, v10
	v_lshrrev_b32_e32 v6, 2, v6
	s_or_b64 vcc, s[2:3], vcc
	v_addc_co_u32_e32 v6, vcc, 0, v6, vcc
	v_cvt_f64_f32_e32 v[10:11], v10
	v_cmp_gt_i32_e32 vcc, 31, v14
	v_cndmask_b32_e32 v6, v8, v6, vcc
	v_cmp_ne_u32_e32 vcc, 0, v4
	v_mul_f64 v[10:11], v[10:11], s[12:13]
	v_cndmask_b32_e64 v4, 0, 1, vcc
	v_lshl_or_b32 v4, v4, 9, v8
	v_cmp_eq_u32_e32 vcc, s11, v14
	v_cndmask_b32_e32 v4, v6, v4, vcc
	v_lshrrev_b32_e32 v6, 16, v15
	v_and_or_b32 v4, v6, s14, v4
	v_and_b32_e32 v2, 0xffff, v2
	v_add_co_u32_e32 v12, vcc, s6, v12
	v_lshl_or_b32 v2, v4, 16, v2
	v_addc_co_u32_e32 v13, vcc, v13, v9, vcc
	global_store_dword v[12:13], v2, off
	v_and_or_b32 v2, v11, s15, v10
	v_cmp_ne_u32_e32 vcc, 0, v2
	v_cndmask_b32_e64 v2, 0, 1, vcc
	v_lshrrev_b32_e32 v4, 8, v11
	v_and_or_b32 v6, v4, s10, v2
	v_bfe_u32 v4, v11, 20, 11
	v_sub_u32_e32 v10, 0x3f1, v4
	v_or_b32_e32 v2, 0x1000, v6
	v_med3_i32 v10, v10, 0, 13
	v_lshrrev_b32_e32 v14, v10, v2
	v_lshlrev_b32_e32 v10, v10, v14
	v_mul_f16_sdwa v3, v74, v3 dst_sel:DWORD dst_unused:UNUSED_PAD src0_sel:WORD_1 src1_sel:DWORD
	v_cmp_ne_u32_e32 vcc, v10, v2
	v_fma_f16 v3, v74, v16, -v3
	v_cndmask_b32_e64 v2, 0, 1, vcc
	v_add_u32_e32 v10, 0xfffffc10, v4
	v_cvt_f32_f16_e32 v3, v3
	v_or_b32_e32 v2, v14, v2
	v_lshl_or_b32 v4, v10, 12, v6
	v_cmp_gt_i32_e32 vcc, 1, v10
	v_cndmask_b32_e32 v2, v4, v2, vcc
	v_and_b32_e32 v4, 7, v2
	v_cmp_lt_i32_e32 vcc, 5, v4
	v_cmp_eq_u32_e64 s[2:3], 3, v4
	v_lshrrev_b32_e32 v4, 2, v2
	v_cvt_f64_f32_e32 v[2:3], v3
	s_or_b64 vcc, s[2:3], vcc
	v_addc_co_u32_e32 v4, vcc, 0, v4, vcc
	v_cmp_gt_i32_e32 vcc, 31, v10
	v_cndmask_b32_e32 v14, v8, v4, vcc
	v_mul_f64 v[3:4], v[2:3], s[12:13]
	v_cmp_ne_u32_e32 vcc, 0, v6
	v_cndmask_b32_e64 v2, 0, 1, vcc
	v_lshl_or_b32 v2, v2, 9, v8
	v_cmp_eq_u32_e32 vcc, s11, v10
	v_cndmask_b32_e32 v2, v14, v2, vcc
	v_lshrrev_b32_e32 v6, 16, v11
	v_and_or_b32 v6, v6, s14, v2
	v_and_or_b32 v2, v4, s15, v3
	v_cmp_ne_u32_e32 vcc, 0, v2
	v_cndmask_b32_e64 v2, 0, 1, vcc
	v_lshrrev_b32_e32 v3, 8, v4
	v_bfe_u32 v10, v4, 20, 11
	v_and_or_b32 v2, v3, s10, v2
	v_sub_u32_e32 v11, 0x3f1, v10
	v_or_b32_e32 v3, 0x1000, v2
	v_med3_i32 v11, v11, 0, 13
	v_lshrrev_b32_e32 v14, v11, v3
	v_lshlrev_b32_e32 v11, v11, v14
	v_cmp_ne_u32_e32 vcc, v11, v3
	v_cndmask_b32_e64 v3, 0, 1, vcc
	v_add_u32_e32 v10, 0xfffffc10, v10
	v_or_b32_e32 v3, v14, v3
	v_lshl_or_b32 v11, v10, 12, v2
	v_cmp_gt_i32_e32 vcc, 1, v10
	v_cndmask_b32_e32 v3, v11, v3, vcc
	v_and_b32_e32 v11, 7, v3
	v_cmp_lt_i32_e32 vcc, 5, v11
	v_cmp_eq_u32_e64 s[2:3], 3, v11
	v_lshrrev_b32_e32 v3, 2, v3
	s_or_b64 vcc, s[2:3], vcc
	v_addc_co_u32_e32 v3, vcc, 0, v3, vcc
	v_cmp_gt_i32_e32 vcc, 31, v10
	v_cndmask_b32_e32 v11, v8, v3, vcc
	v_cmp_ne_u32_e32 vcc, 0, v2
	v_cndmask_b32_e64 v2, 0, 1, vcc
	v_lshl_or_b32 v14, v2, 9, v8
	v_add_u32_e32 v2, 0x800, v64
	ds_read2_b32 v[2:3], v2 offset0:13 offset1:138
	v_cmp_eq_u32_e32 vcc, s11, v10
	v_cndmask_b32_e32 v10, v11, v14, vcc
	v_lshrrev_b32_e32 v4, 16, v4
	v_and_or_b32 v4, v4, s14, v10
	s_waitcnt lgkmcnt(0)
	v_lshrrev_b32_e32 v14, 16, v2
	v_mul_f16_sdwa v10, v73, v14 dst_sel:DWORD dst_unused:UNUSED_PAD src0_sel:WORD_1 src1_sel:DWORD
	v_fma_f16 v10, v73, v2, v10
	v_cvt_f32_f16_e32 v10, v10
	s_mul_hi_u32 s3, s8, 0xfffffa3d
	s_mul_i32 s2, s9, 0xfffffa3d
	s_sub_i32 s3, s3, s8
	v_cvt_f64_f32_e32 v[10:11], v10
	s_add_i32 s3, s3, s2
	s_mul_i32 s2, s8, 0xfffffa3d
	v_and_b32_e32 v6, 0xffff, v6
	v_mul_f64 v[10:11], v[10:11], s[12:13]
	s_lshl_b64 s[4:5], s[2:3], 2
	v_lshl_or_b32 v4, v4, 16, v6
	v_mov_b32_e32 v6, s5
	v_add_co_u32_e32 v12, vcc, s4, v12
	v_addc_co_u32_e32 v13, vcc, v13, v6, vcc
	global_store_dword v[12:13], v4, off
	v_and_or_b32 v4, v11, s15, v10
	v_cmp_ne_u32_e32 vcc, 0, v4
	v_cndmask_b32_e64 v4, 0, 1, vcc
	v_lshrrev_b32_e32 v10, 8, v11
	v_bfe_u32 v15, v11, 20, 11
	v_and_or_b32 v4, v10, s10, v4
	v_sub_u32_e32 v16, 0x3f1, v15
	v_or_b32_e32 v10, 0x1000, v4
	v_med3_i32 v16, v16, 0, 13
	v_lshrrev_b32_e32 v17, v16, v10
	v_lshlrev_b32_e32 v16, v16, v17
	v_mul_f16_sdwa v2, v73, v2 dst_sel:DWORD dst_unused:UNUSED_PAD src0_sel:WORD_1 src1_sel:DWORD
	v_cmp_ne_u32_e32 vcc, v16, v10
	v_fma_f16 v2, v73, v14, -v2
	v_cndmask_b32_e64 v10, 0, 1, vcc
	v_add_u32_e32 v16, 0xfffffc10, v15
	v_cvt_f32_f16_e32 v2, v2
	v_or_b32_e32 v10, v17, v10
	v_lshl_or_b32 v15, v16, 12, v4
	v_cmp_gt_i32_e32 vcc, 1, v16
	v_cndmask_b32_e32 v10, v15, v10, vcc
	v_and_b32_e32 v15, 7, v10
	v_cmp_lt_i32_e32 vcc, 5, v15
	v_cmp_eq_u32_e64 s[2:3], 3, v15
	v_cvt_f64_f32_e32 v[14:15], v2
	v_lshrrev_b32_e32 v10, 2, v10
	s_or_b64 vcc, s[2:3], vcc
	v_addc_co_u32_e32 v2, vcc, 0, v10, vcc
	v_mul_f64 v[14:15], v[14:15], s[12:13]
	v_cmp_gt_i32_e32 vcc, 31, v16
	v_cndmask_b32_e32 v2, v8, v2, vcc
	v_cmp_ne_u32_e32 vcc, 0, v4
	v_cndmask_b32_e64 v4, 0, 1, vcc
	v_lshl_or_b32 v4, v4, 9, v8
	v_cmp_eq_u32_e32 vcc, s11, v16
	v_cndmask_b32_e32 v2, v2, v4, vcc
	v_lshrrev_b32_e32 v4, 16, v11
	v_and_or_b32 v2, v4, s14, v2
	v_and_or_b32 v4, v15, s15, v14
	v_cmp_ne_u32_e32 vcc, 0, v4
	v_cndmask_b32_e64 v4, 0, 1, vcc
	v_lshrrev_b32_e32 v10, 8, v15
	v_bfe_u32 v11, v15, 20, 11
	v_and_or_b32 v4, v10, s10, v4
	v_sub_u32_e32 v14, 0x3f1, v11
	v_or_b32_e32 v10, 0x1000, v4
	v_med3_i32 v14, v14, 0, 13
	v_lshrrev_b32_e32 v16, v14, v10
	v_lshlrev_b32_e32 v14, v14, v16
	v_cmp_ne_u32_e32 vcc, v14, v10
	v_cndmask_b32_e64 v10, 0, 1, vcc
	v_add_u32_e32 v14, 0xfffffc10, v11
	v_or_b32_e32 v10, v16, v10
	v_lshl_or_b32 v11, v14, 12, v4
	v_cmp_gt_i32_e32 vcc, 1, v14
	v_cndmask_b32_e32 v10, v11, v10, vcc
	v_and_b32_e32 v11, 7, v10
	v_cmp_lt_i32_e32 vcc, 5, v11
	v_cmp_eq_u32_e64 s[2:3], 3, v11
	v_lshrrev_b32_e32 v10, 2, v10
	s_or_b64 vcc, s[2:3], vcc
	v_addc_co_u32_e32 v10, vcc, 0, v10, vcc
	v_cmp_gt_i32_e32 vcc, 31, v14
	v_lshrrev_b32_e32 v17, 16, v5
	v_cndmask_b32_e32 v16, v8, v10, vcc
	v_mul_f16_sdwa v10, v72, v17 dst_sel:DWORD dst_unused:UNUSED_PAD src0_sel:WORD_1 src1_sel:DWORD
	v_fma_f16 v10, v72, v5, v10
	v_cvt_f32_f16_e32 v10, v10
	v_cmp_ne_u32_e32 vcc, 0, v4
	v_cndmask_b32_e64 v4, 0, 1, vcc
	v_lshl_or_b32 v4, v4, 9, v8
	v_cvt_f64_f32_e32 v[10:11], v10
	v_cmp_eq_u32_e32 vcc, s11, v14
	v_cndmask_b32_e32 v4, v16, v4, vcc
	v_lshrrev_b32_e32 v14, 16, v15
	v_mul_f64 v[10:11], v[10:11], s[12:13]
	v_and_or_b32 v4, v14, s14, v4
	v_and_b32_e32 v2, 0xffff, v2
	v_add_co_u32_e32 v12, vcc, s6, v12
	v_lshl_or_b32 v2, v4, 16, v2
	v_addc_co_u32_e32 v13, vcc, v13, v9, vcc
	global_store_dword v[12:13], v2, off
	v_and_or_b32 v2, v11, s15, v10
	v_cmp_ne_u32_e32 vcc, 0, v2
	v_cndmask_b32_e64 v2, 0, 1, vcc
	v_lshrrev_b32_e32 v4, 8, v11
	v_bfe_u32 v10, v11, 20, 11
	v_and_or_b32 v2, v4, s10, v2
	v_sub_u32_e32 v14, 0x3f1, v10
	v_or_b32_e32 v4, 0x1000, v2
	v_med3_i32 v14, v14, 0, 13
	v_lshrrev_b32_e32 v15, v14, v4
	v_lshlrev_b32_e32 v14, v14, v15
	v_mul_f16_sdwa v5, v72, v5 dst_sel:DWORD dst_unused:UNUSED_PAD src0_sel:WORD_1 src1_sel:DWORD
	v_cmp_ne_u32_e32 vcc, v14, v4
	v_fma_f16 v5, v72, v17, -v5
	v_cndmask_b32_e64 v4, 0, 1, vcc
	v_add_u32_e32 v10, 0xfffffc10, v10
	v_cvt_f32_f16_e32 v5, v5
	v_or_b32_e32 v4, v15, v4
	v_lshl_or_b32 v14, v10, 12, v2
	v_cmp_gt_i32_e32 vcc, 1, v10
	v_cndmask_b32_e32 v4, v14, v4, vcc
	v_and_b32_e32 v14, 7, v4
	v_cmp_lt_i32_e32 vcc, 5, v14
	v_cmp_eq_u32_e64 s[2:3], 3, v14
	v_lshrrev_b32_e32 v14, 2, v4
	v_cvt_f64_f32_e32 v[4:5], v5
	s_or_b64 vcc, s[2:3], vcc
	v_addc_co_u32_e32 v14, vcc, 0, v14, vcc
	v_cmp_gt_i32_e32 vcc, 31, v10
	v_cndmask_b32_e32 v16, v8, v14, vcc
	v_mul_f64 v[14:15], v[4:5], s[12:13]
	v_cmp_ne_u32_e32 vcc, 0, v2
	v_cndmask_b32_e64 v2, 0, 1, vcc
	v_lshl_or_b32 v2, v2, 9, v8
	v_cmp_eq_u32_e32 vcc, s11, v10
	v_cndmask_b32_e32 v2, v16, v2, vcc
	v_lshrrev_b32_e32 v4, 16, v11
	v_and_or_b32 v2, v4, s14, v2
	v_and_or_b32 v4, v15, s15, v14
	v_cmp_ne_u32_e32 vcc, 0, v4
	v_cndmask_b32_e64 v4, 0, 1, vcc
	v_lshrrev_b32_e32 v5, 8, v15
	v_and_or_b32 v10, v5, s10, v4
	v_bfe_u32 v5, v15, 20, 11
	v_sub_u32_e32 v11, 0x3f1, v5
	v_or_b32_e32 v4, 0x1000, v10
	v_med3_i32 v11, v11, 0, 13
	v_lshrrev_b32_e32 v14, v11, v4
	v_lshlrev_b32_e32 v11, v11, v14
	v_cmp_ne_u32_e32 vcc, v11, v4
	v_cndmask_b32_e64 v4, 0, 1, vcc
	v_or_b32_e32 v4, v14, v4
	v_add_u32_e32 v14, 0xfffffc10, v5
	v_lshl_or_b32 v5, v14, 12, v10
	v_cmp_gt_i32_e32 vcc, 1, v14
	v_cndmask_b32_e32 v4, v5, v4, vcc
	v_and_b32_e32 v5, 7, v4
	v_lshrrev_b32_e32 v11, 2, v4
	v_add_u32_e32 v4, 0x1400, v64
	v_cmp_lt_i32_e32 vcc, 5, v5
	v_cmp_eq_u32_e64 s[2:3], 3, v5
	ds_read2_b32 v[4:5], v4 offset0:45 offset1:170
	s_or_b64 vcc, s[2:3], vcc
	v_addc_co_u32_e32 v11, vcc, 0, v11, vcc
	v_cmp_gt_i32_e32 vcc, 31, v14
	s_waitcnt lgkmcnt(0)
	v_lshrrev_b32_e32 v17, 16, v4
	v_cndmask_b32_e32 v16, v8, v11, vcc
	v_mul_f16_sdwa v11, v71, v17 dst_sel:DWORD dst_unused:UNUSED_PAD src0_sel:WORD_1 src1_sel:DWORD
	v_fma_f16 v11, v71, v4, v11
	v_cvt_f32_f16_e32 v11, v11
	v_cmp_ne_u32_e32 vcc, 0, v10
	v_cndmask_b32_e64 v10, 0, 1, vcc
	v_lshl_or_b32 v18, v10, 9, v8
	v_cvt_f64_f32_e32 v[10:11], v11
	v_cmp_eq_u32_e32 vcc, s11, v14
	v_cndmask_b32_e32 v14, v16, v18, vcc
	v_lshrrev_b32_e32 v15, 16, v15
	v_mul_f64 v[10:11], v[10:11], s[12:13]
	v_and_or_b32 v14, v15, s14, v14
	v_and_b32_e32 v2, 0xffff, v2
	v_add_co_u32_e32 v12, vcc, s6, v12
	v_lshl_or_b32 v2, v14, 16, v2
	v_addc_co_u32_e32 v13, vcc, v13, v9, vcc
	global_store_dword v[12:13], v2, off
	v_and_or_b32 v2, v11, s15, v10
	v_cmp_ne_u32_e32 vcc, 0, v2
	v_cndmask_b32_e64 v2, 0, 1, vcc
	v_lshrrev_b32_e32 v10, 8, v11
	v_bfe_u32 v14, v11, 20, 11
	v_and_or_b32 v2, v10, s10, v2
	v_sub_u32_e32 v15, 0x3f1, v14
	v_or_b32_e32 v10, 0x1000, v2
	v_med3_i32 v15, v15, 0, 13
	v_lshrrev_b32_e32 v16, v15, v10
	v_lshlrev_b32_e32 v15, v15, v16
	v_cmp_ne_u32_e32 vcc, v15, v10
	v_mul_f16_sdwa v4, v71, v4 dst_sel:DWORD dst_unused:UNUSED_PAD src0_sel:WORD_1 src1_sel:DWORD
	v_cndmask_b32_e64 v10, 0, 1, vcc
	v_fma_f16 v4, v71, v17, -v4
	v_or_b32_e32 v10, v16, v10
	v_add_u32_e32 v16, 0xfffffc10, v14
	v_cvt_f32_f16_e32 v4, v4
	v_lshl_or_b32 v14, v16, 12, v2
	v_cmp_gt_i32_e32 vcc, 1, v16
	v_cndmask_b32_e32 v10, v14, v10, vcc
	v_and_b32_e32 v14, 7, v10
	v_cmp_lt_i32_e32 vcc, 5, v14
	v_cmp_eq_u32_e64 s[2:3], 3, v14
	v_cvt_f64_f32_e32 v[14:15], v4
	v_lshrrev_b32_e32 v10, 2, v10
	s_or_b64 vcc, s[2:3], vcc
	v_addc_co_u32_e32 v4, vcc, 0, v10, vcc
	v_mul_f64 v[14:15], v[14:15], s[12:13]
	v_cmp_gt_i32_e32 vcc, 31, v16
	v_cndmask_b32_e32 v4, v8, v4, vcc
	v_cmp_ne_u32_e32 vcc, 0, v2
	v_cndmask_b32_e64 v2, 0, 1, vcc
	v_lshl_or_b32 v2, v2, 9, v8
	v_cmp_eq_u32_e32 vcc, s11, v16
	v_cndmask_b32_e32 v2, v4, v2, vcc
	v_lshrrev_b32_e32 v4, 16, v11
	v_and_or_b32 v2, v4, s14, v2
	v_and_or_b32 v4, v15, s15, v14
	v_cmp_ne_u32_e32 vcc, 0, v4
	v_cndmask_b32_e64 v4, 0, 1, vcc
	v_lshrrev_b32_e32 v10, 8, v15
	v_bfe_u32 v11, v15, 20, 11
	v_and_or_b32 v4, v10, s10, v4
	v_sub_u32_e32 v14, 0x3f1, v11
	v_or_b32_e32 v10, 0x1000, v4
	v_med3_i32 v14, v14, 0, 13
	v_lshrrev_b32_e32 v16, v14, v10
	v_lshlrev_b32_e32 v14, v14, v16
	v_cmp_ne_u32_e32 vcc, v14, v10
	v_cndmask_b32_e64 v10, 0, 1, vcc
	v_add_u32_e32 v14, 0xfffffc10, v11
	v_or_b32_e32 v10, v16, v10
	v_lshl_or_b32 v11, v14, 12, v4
	v_cmp_gt_i32_e32 vcc, 1, v14
	v_cndmask_b32_e32 v10, v11, v10, vcc
	v_and_b32_e32 v11, 7, v10
	v_cmp_lt_i32_e32 vcc, 5, v11
	v_cmp_eq_u32_e64 s[2:3], 3, v11
	v_lshrrev_b32_e32 v10, 2, v10
	s_or_b64 vcc, s[2:3], vcc
	v_addc_co_u32_e32 v10, vcc, 0, v10, vcc
	v_cmp_gt_i32_e32 vcc, 31, v14
	v_lshrrev_b32_e32 v17, 16, v7
	v_cndmask_b32_e32 v16, v8, v10, vcc
	v_mul_f16_sdwa v10, v70, v17 dst_sel:DWORD dst_unused:UNUSED_PAD src0_sel:WORD_1 src1_sel:DWORD
	v_fma_f16 v10, v70, v7, v10
	v_cvt_f32_f16_e32 v10, v10
	v_cmp_ne_u32_e32 vcc, 0, v4
	v_cndmask_b32_e64 v4, 0, 1, vcc
	v_lshl_or_b32 v4, v4, 9, v8
	v_cvt_f64_f32_e32 v[10:11], v10
	v_cmp_eq_u32_e32 vcc, s11, v14
	v_cndmask_b32_e32 v4, v16, v4, vcc
	v_lshrrev_b32_e32 v14, 16, v15
	v_mul_f64 v[10:11], v[10:11], s[12:13]
	v_and_or_b32 v4, v14, s14, v4
	v_and_b32_e32 v2, 0xffff, v2
	v_add_co_u32_e32 v12, vcc, s6, v12
	v_lshl_or_b32 v2, v4, 16, v2
	v_addc_co_u32_e32 v13, vcc, v13, v9, vcc
	global_store_dword v[12:13], v2, off
	v_and_or_b32 v2, v11, s15, v10
	v_cmp_ne_u32_e32 vcc, 0, v2
	v_cndmask_b32_e64 v2, 0, 1, vcc
	v_lshrrev_b32_e32 v4, 8, v11
	v_bfe_u32 v10, v11, 20, 11
	v_and_or_b32 v2, v4, s10, v2
	v_sub_u32_e32 v14, 0x3f1, v10
	v_or_b32_e32 v4, 0x1000, v2
	v_med3_i32 v14, v14, 0, 13
	v_lshrrev_b32_e32 v15, v14, v4
	v_lshlrev_b32_e32 v14, v14, v15
	v_mul_f16_sdwa v7, v70, v7 dst_sel:DWORD dst_unused:UNUSED_PAD src0_sel:WORD_1 src1_sel:DWORD
	v_cmp_ne_u32_e32 vcc, v14, v4
	v_fma_f16 v7, v70, v17, -v7
	v_cndmask_b32_e64 v4, 0, 1, vcc
	v_add_u32_e32 v10, 0xfffffc10, v10
	v_cvt_f32_f16_e32 v7, v7
	v_or_b32_e32 v4, v15, v4
	v_lshl_or_b32 v14, v10, 12, v2
	v_cmp_gt_i32_e32 vcc, 1, v10
	v_cndmask_b32_e32 v4, v14, v4, vcc
	v_and_b32_e32 v14, 7, v4
	v_cmp_lt_i32_e32 vcc, 5, v14
	v_cmp_eq_u32_e64 s[2:3], 3, v14
	v_cvt_f64_f32_e32 v[14:15], v7
	v_lshrrev_b32_e32 v4, 2, v4
	s_or_b64 vcc, s[2:3], vcc
	v_addc_co_u32_e32 v4, vcc, 0, v4, vcc
	v_mul_f64 v[14:15], v[14:15], s[12:13]
	v_cmp_gt_i32_e32 vcc, 31, v10
	v_cndmask_b32_e32 v4, v8, v4, vcc
	v_cmp_ne_u32_e32 vcc, 0, v2
	v_cndmask_b32_e64 v2, 0, 1, vcc
	v_lshl_or_b32 v2, v2, 9, v8
	v_cmp_eq_u32_e32 vcc, s11, v10
	v_cndmask_b32_e32 v2, v4, v2, vcc
	v_lshrrev_b32_e32 v4, 16, v11
	v_and_or_b32 v2, v4, s14, v2
	v_and_or_b32 v4, v15, s15, v14
	v_cmp_ne_u32_e32 vcc, 0, v4
	v_cndmask_b32_e64 v4, 0, 1, vcc
	v_lshrrev_b32_e32 v7, 8, v15
	v_bfe_u32 v10, v15, 20, 11
	v_and_or_b32 v4, v7, s10, v4
	v_sub_u32_e32 v11, 0x3f1, v10
	v_or_b32_e32 v7, 0x1000, v4
	v_med3_i32 v11, v11, 0, 13
	v_lshrrev_b32_e32 v14, v11, v7
	v_lshlrev_b32_e32 v11, v11, v14
	v_cmp_ne_u32_e32 vcc, v11, v7
	v_cndmask_b32_e64 v7, 0, 1, vcc
	v_or_b32_e32 v7, v14, v7
	v_add_u32_e32 v14, 0xfffffc10, v10
	v_lshl_or_b32 v10, v14, 12, v4
	v_cmp_gt_i32_e32 vcc, 1, v14
	v_cndmask_b32_e32 v7, v10, v7, vcc
	v_and_b32_e32 v10, 7, v7
	v_lshrrev_b32_e32 v16, 16, v0
	v_cmp_lt_i32_e32 vcc, 5, v10
	v_cmp_eq_u32_e64 s[2:3], 3, v10
	v_mul_f16_sdwa v10, v69, v16 dst_sel:DWORD dst_unused:UNUSED_PAD src0_sel:WORD_1 src1_sel:DWORD
	v_fma_f16 v10, v69, v0, v10
	v_cvt_f32_f16_e32 v10, v10
	v_lshrrev_b32_e32 v7, 2, v7
	s_or_b64 vcc, s[2:3], vcc
	v_addc_co_u32_e32 v7, vcc, 0, v7, vcc
	v_cvt_f64_f32_e32 v[10:11], v10
	v_cmp_gt_i32_e32 vcc, 31, v14
	v_cndmask_b32_e32 v7, v8, v7, vcc
	v_cmp_ne_u32_e32 vcc, 0, v4
	v_mul_f64 v[10:11], v[10:11], s[12:13]
	v_cndmask_b32_e64 v4, 0, 1, vcc
	v_lshl_or_b32 v4, v4, 9, v8
	v_cmp_eq_u32_e32 vcc, s11, v14
	v_cndmask_b32_e32 v4, v7, v4, vcc
	v_lshrrev_b32_e32 v7, 16, v15
	v_and_or_b32 v4, v7, s14, v4
	v_and_b32_e32 v2, 0xffff, v2
	v_add_co_u32_e32 v12, vcc, s6, v12
	v_lshl_or_b32 v2, v4, 16, v2
	v_addc_co_u32_e32 v13, vcc, v13, v9, vcc
	global_store_dword v[12:13], v2, off
	v_and_or_b32 v2, v11, s15, v10
	v_cmp_ne_u32_e32 vcc, 0, v2
	v_cndmask_b32_e64 v2, 0, 1, vcc
	v_lshrrev_b32_e32 v4, 8, v11
	v_bfe_u32 v7, v11, 20, 11
	v_and_or_b32 v2, v4, s10, v2
	v_sub_u32_e32 v10, 0x3f1, v7
	v_mul_f16_sdwa v0, v69, v0 dst_sel:DWORD dst_unused:UNUSED_PAD src0_sel:WORD_1 src1_sel:DWORD
	v_or_b32_e32 v4, 0x1000, v2
	v_med3_i32 v10, v10, 0, 13
	v_fma_f16 v0, v69, v16, -v0
	v_lshrrev_b32_e32 v14, v10, v4
	v_cvt_f32_f16_e32 v0, v0
	v_lshlrev_b32_e32 v10, v10, v14
	v_cmp_ne_u32_e32 vcc, v10, v4
	v_cndmask_b32_e64 v4, 0, 1, vcc
	v_or_b32_e32 v4, v14, v4
	v_add_u32_e32 v7, 0xfffffc10, v7
	v_cvt_f64_f32_e32 v[14:15], v0
	v_lshl_or_b32 v10, v7, 12, v2
	v_cmp_gt_i32_e32 vcc, 1, v7
	v_cndmask_b32_e32 v4, v10, v4, vcc
	v_and_b32_e32 v10, 7, v4
	v_cmp_lt_i32_e32 vcc, 5, v10
	v_cmp_eq_u32_e64 s[2:3], 3, v10
	v_mul_f64 v[14:15], v[14:15], s[12:13]
	v_lshrrev_b32_e32 v4, 2, v4
	s_or_b64 vcc, s[2:3], vcc
	v_addc_co_u32_e32 v0, vcc, 0, v4, vcc
	v_cmp_gt_i32_e32 vcc, 31, v7
	v_cndmask_b32_e32 v0, v8, v0, vcc
	v_cmp_ne_u32_e32 vcc, 0, v2
	v_cndmask_b32_e64 v2, 0, 1, vcc
	v_lshl_or_b32 v2, v2, 9, v8
	v_cmp_eq_u32_e32 vcc, s11, v7
	v_cndmask_b32_e32 v0, v0, v2, vcc
	v_lshrrev_b32_e32 v2, 16, v11
	v_and_or_b32 v0, v2, s14, v0
	v_and_or_b32 v2, v15, s15, v14
	v_cmp_ne_u32_e32 vcc, 0, v2
	v_cndmask_b32_e64 v2, 0, 1, vcc
	v_lshrrev_b32_e32 v4, 8, v15
	v_bfe_u32 v7, v15, 20, 11
	v_and_or_b32 v2, v4, s10, v2
	v_sub_u32_e32 v10, 0x3f1, v7
	v_or_b32_e32 v4, 0x1000, v2
	v_med3_i32 v10, v10, 0, 13
	v_lshrrev_b32_e32 v11, v10, v4
	v_lshlrev_b32_e32 v10, v10, v11
	v_cmp_ne_u32_e32 vcc, v10, v4
	v_cndmask_b32_e64 v4, 0, 1, vcc
	v_add_u32_e32 v7, 0xfffffc10, v7
	v_or_b32_e32 v4, v11, v4
	v_lshl_or_b32 v10, v7, 12, v2
	v_cmp_gt_i32_e32 vcc, 1, v7
	v_cndmask_b32_e32 v4, v10, v4, vcc
	v_and_b32_e32 v10, 7, v4
	v_lshrrev_b32_e32 v14, 16, v3
	v_cmp_lt_i32_e32 vcc, 5, v10
	v_cmp_eq_u32_e64 s[2:3], 3, v10
	v_mul_f16_sdwa v10, v68, v14 dst_sel:DWORD dst_unused:UNUSED_PAD src0_sel:WORD_1 src1_sel:DWORD
	v_fma_f16 v10, v68, v3, v10
	v_cvt_f32_f16_e32 v10, v10
	v_lshrrev_b32_e32 v4, 2, v4
	s_or_b64 vcc, s[2:3], vcc
	v_addc_co_u32_e32 v4, vcc, 0, v4, vcc
	v_cvt_f64_f32_e32 v[10:11], v10
	v_cmp_gt_i32_e32 vcc, 31, v7
	v_cndmask_b32_e32 v4, v8, v4, vcc
	v_cmp_ne_u32_e32 vcc, 0, v2
	v_mul_f64 v[10:11], v[10:11], s[12:13]
	v_cndmask_b32_e64 v2, 0, 1, vcc
	v_lshl_or_b32 v2, v2, 9, v8
	v_cmp_eq_u32_e32 vcc, s11, v7
	v_cndmask_b32_e32 v2, v4, v2, vcc
	v_lshrrev_b32_e32 v4, 16, v15
	v_and_or_b32 v2, v4, s14, v2
	v_and_b32_e32 v0, 0xffff, v0
	v_add_co_u32_e32 v12, vcc, s4, v12
	v_lshl_or_b32 v0, v2, 16, v0
	v_addc_co_u32_e32 v13, vcc, v13, v6, vcc
	global_store_dword v[12:13], v0, off
	v_and_or_b32 v0, v11, s15, v10
	v_cmp_ne_u32_e32 vcc, 0, v0
	v_cndmask_b32_e64 v0, 0, 1, vcc
	v_lshrrev_b32_e32 v2, 8, v11
	v_bfe_u32 v4, v11, 20, 11
	v_and_or_b32 v0, v2, s10, v0
	v_sub_u32_e32 v6, 0x3f1, v4
	v_or_b32_e32 v2, 0x1000, v0
	v_med3_i32 v6, v6, 0, 13
	v_lshrrev_b32_e32 v7, v6, v2
	v_lshlrev_b32_e32 v6, v6, v7
	v_mul_f16_sdwa v3, v68, v3 dst_sel:DWORD dst_unused:UNUSED_PAD src0_sel:WORD_1 src1_sel:DWORD
	v_cmp_ne_u32_e32 vcc, v6, v2
	v_fma_f16 v3, v68, v14, -v3
	v_cndmask_b32_e64 v2, 0, 1, vcc
	v_add_u32_e32 v4, 0xfffffc10, v4
	v_cvt_f32_f16_e32 v3, v3
	v_or_b32_e32 v2, v7, v2
	v_lshl_or_b32 v6, v4, 12, v0
	v_cmp_gt_i32_e32 vcc, 1, v4
	v_cndmask_b32_e32 v2, v6, v2, vcc
	v_and_b32_e32 v6, 7, v2
	v_cmp_lt_i32_e32 vcc, 5, v6
	v_cmp_eq_u32_e64 s[2:3], 3, v6
	v_lshrrev_b32_e32 v6, 2, v2
	v_cvt_f64_f32_e32 v[2:3], v3
	s_or_b64 vcc, s[2:3], vcc
	v_addc_co_u32_e32 v6, vcc, 0, v6, vcc
	v_mul_f64 v[2:3], v[2:3], s[12:13]
	v_cmp_gt_i32_e32 vcc, 31, v4
	v_cndmask_b32_e32 v6, v8, v6, vcc
	v_cmp_ne_u32_e32 vcc, 0, v0
	v_cndmask_b32_e64 v0, 0, 1, vcc
	v_lshl_or_b32 v0, v0, 9, v8
	v_cmp_eq_u32_e32 vcc, s11, v4
	v_cndmask_b32_e32 v0, v6, v0, vcc
	v_and_or_b32 v2, v3, s15, v2
	v_lshrrev_b32_e32 v4, 16, v11
	v_cmp_ne_u32_e32 vcc, 0, v2
	v_and_or_b32 v0, v4, s14, v0
	v_cndmask_b32_e64 v2, 0, 1, vcc
	v_lshrrev_b32_e32 v4, 8, v3
	v_bfe_u32 v6, v3, 20, 11
	v_and_or_b32 v2, v4, s10, v2
	v_sub_u32_e32 v7, 0x3f1, v6
	v_or_b32_e32 v4, 0x1000, v2
	v_med3_i32 v7, v7, 0, 13
	v_lshrrev_b32_e32 v10, v7, v4
	v_lshlrev_b32_e32 v7, v7, v10
	v_cmp_ne_u32_e32 vcc, v7, v4
	v_cndmask_b32_e64 v4, 0, 1, vcc
	v_or_b32_e32 v4, v10, v4
	v_add_u32_e32 v10, 0xfffffc10, v6
	v_lshl_or_b32 v6, v10, 12, v2
	v_cmp_gt_i32_e32 vcc, 1, v10
	v_cndmask_b32_e32 v4, v6, v4, vcc
	v_and_b32_e32 v6, 7, v4
	v_lshrrev_b32_e32 v11, 16, v1
	v_cmp_lt_i32_e32 vcc, 5, v6
	v_cmp_eq_u32_e64 s[2:3], 3, v6
	v_mul_f16_sdwa v6, v67, v11 dst_sel:DWORD dst_unused:UNUSED_PAD src0_sel:WORD_1 src1_sel:DWORD
	v_fma_f16 v6, v67, v1, v6
	v_cvt_f32_f16_e32 v6, v6
	v_lshrrev_b32_e32 v4, 2, v4
	s_or_b64 vcc, s[2:3], vcc
	v_addc_co_u32_e32 v4, vcc, 0, v4, vcc
	v_cmp_gt_i32_e32 vcc, 31, v10
	v_cndmask_b32_e32 v4, v8, v4, vcc
	v_cmp_ne_u32_e32 vcc, 0, v2
	v_cvt_f64_f32_e32 v[6:7], v6
	v_cndmask_b32_e64 v2, 0, 1, vcc
	v_lshl_or_b32 v2, v2, 9, v8
	v_cmp_eq_u32_e32 vcc, s11, v10
	v_cndmask_b32_e32 v2, v4, v2, vcc
	v_lshrrev_b32_e32 v3, 16, v3
	v_and_or_b32 v4, v3, s14, v2
	v_mul_f64 v[2:3], v[6:7], s[12:13]
	v_and_b32_e32 v0, 0xffff, v0
	v_add_co_u32_e32 v6, vcc, s6, v12
	v_lshl_or_b32 v0, v4, 16, v0
	v_addc_co_u32_e32 v7, vcc, v13, v9, vcc
	global_store_dword v[6:7], v0, off
	v_and_or_b32 v0, v3, s15, v2
	v_cmp_ne_u32_e32 vcc, 0, v0
	v_cndmask_b32_e64 v0, 0, 1, vcc
	v_lshrrev_b32_e32 v2, 8, v3
	v_bfe_u32 v4, v3, 20, 11
	v_and_or_b32 v2, v2, s10, v0
	v_sub_u32_e32 v10, 0x3f1, v4
	v_or_b32_e32 v0, 0x1000, v2
	v_med3_i32 v10, v10, 0, 13
	v_lshrrev_b32_e32 v12, v10, v0
	v_lshlrev_b32_e32 v10, v10, v12
	v_mul_f16_sdwa v1, v67, v1 dst_sel:DWORD dst_unused:UNUSED_PAD src0_sel:WORD_1 src1_sel:DWORD
	v_cmp_ne_u32_e32 vcc, v10, v0
	v_fma_f16 v1, v67, v11, -v1
	v_cndmask_b32_e64 v0, 0, 1, vcc
	v_add_u32_e32 v4, 0xfffffc10, v4
	v_cvt_f32_f16_e32 v1, v1
	v_or_b32_e32 v0, v12, v0
	v_lshl_or_b32 v10, v4, 12, v2
	v_cmp_gt_i32_e32 vcc, 1, v4
	v_cndmask_b32_e32 v0, v10, v0, vcc
	v_and_b32_e32 v10, 7, v0
	v_cmp_lt_i32_e32 vcc, 5, v10
	v_cmp_eq_u32_e64 s[2:3], 3, v10
	v_lshrrev_b32_e32 v10, 2, v0
	v_cvt_f64_f32_e32 v[0:1], v1
	s_or_b64 vcc, s[2:3], vcc
	v_addc_co_u32_e32 v10, vcc, 0, v10, vcc
	v_mul_f64 v[0:1], v[0:1], s[12:13]
	v_cmp_gt_i32_e32 vcc, 31, v4
	v_cndmask_b32_e32 v10, v8, v10, vcc
	v_cmp_ne_u32_e32 vcc, 0, v2
	v_cndmask_b32_e64 v2, 0, 1, vcc
	v_lshl_or_b32 v2, v2, 9, v8
	v_cmp_eq_u32_e32 vcc, s11, v4
	v_cndmask_b32_e32 v2, v10, v2, vcc
	v_and_or_b32 v0, v1, s15, v0
	v_lshrrev_b32_e32 v3, 16, v3
	v_cmp_ne_u32_e32 vcc, 0, v0
	v_and_or_b32 v4, v3, s14, v2
	v_cndmask_b32_e64 v0, 0, 1, vcc
	v_lshrrev_b32_e32 v2, 8, v1
	v_bfe_u32 v3, v1, 20, 11
	v_and_or_b32 v0, v2, s10, v0
	v_sub_u32_e32 v10, 0x3f1, v3
	v_or_b32_e32 v2, 0x1000, v0
	v_med3_i32 v10, v10, 0, 13
	v_lshrrev_b32_e32 v11, v10, v2
	v_lshlrev_b32_e32 v10, v10, v11
	v_cmp_ne_u32_e32 vcc, v10, v2
	v_cndmask_b32_e64 v2, 0, 1, vcc
	v_add_u32_e32 v10, 0xfffffc10, v3
	v_or_b32_e32 v2, v11, v2
	v_lshl_or_b32 v3, v10, 12, v0
	v_cmp_gt_i32_e32 vcc, 1, v10
	v_cndmask_b32_e32 v2, v3, v2, vcc
	v_and_b32_e32 v3, 7, v2
	v_cmp_lt_i32_e32 vcc, 5, v3
	v_cmp_eq_u32_e64 s[2:3], 3, v3
	v_lshrrev_b32_e32 v2, 2, v2
	s_or_b64 vcc, s[2:3], vcc
	v_addc_co_u32_e32 v2, vcc, 0, v2, vcc
	v_cmp_gt_i32_e32 vcc, 31, v10
	v_lshrrev_b32_e32 v12, 16, v5
	v_cndmask_b32_e32 v11, v8, v2, vcc
	v_mul_f16_sdwa v2, v66, v12 dst_sel:DWORD dst_unused:UNUSED_PAD src0_sel:WORD_1 src1_sel:DWORD
	v_fma_f16 v2, v66, v5, v2
	v_cvt_f32_f16_e32 v2, v2
	v_cmp_ne_u32_e32 vcc, 0, v0
	v_cndmask_b32_e64 v0, 0, 1, vcc
	v_lshl_or_b32 v0, v0, 9, v8
	v_cvt_f64_f32_e32 v[2:3], v2
	v_cmp_eq_u32_e32 vcc, s11, v10
	v_cndmask_b32_e32 v0, v11, v0, vcc
	v_lshrrev_b32_e32 v1, 16, v1
	v_and_or_b32 v10, v1, s14, v0
	v_mul_f64 v[0:1], v[2:3], s[12:13]
	v_and_b32_e32 v2, 0xffff, v4
	v_lshl_or_b32 v4, v10, 16, v2
	v_add_co_u32_e32 v2, vcc, s6, v6
	v_addc_co_u32_e32 v3, vcc, v7, v9, vcc
	global_store_dword v[2:3], v4, off
	v_and_or_b32 v0, v1, s15, v0
	v_cmp_ne_u32_e32 vcc, 0, v0
	v_cndmask_b32_e64 v0, 0, 1, vcc
	v_lshrrev_b32_e32 v4, 8, v1
	v_bfe_u32 v6, v1, 20, 11
	v_and_or_b32 v0, v4, s10, v0
	v_sub_u32_e32 v7, 0x3f1, v6
	v_or_b32_e32 v4, 0x1000, v0
	v_med3_i32 v7, v7, 0, 13
	v_lshrrev_b32_e32 v10, v7, v4
	v_lshlrev_b32_e32 v7, v7, v10
	v_mul_f16_sdwa v5, v66, v5 dst_sel:DWORD dst_unused:UNUSED_PAD src0_sel:WORD_1 src1_sel:DWORD
	v_cmp_ne_u32_e32 vcc, v7, v4
	v_fma_f16 v5, v66, v12, -v5
	v_cndmask_b32_e64 v4, 0, 1, vcc
	v_add_u32_e32 v6, 0xfffffc10, v6
	v_cvt_f32_f16_e32 v5, v5
	v_or_b32_e32 v4, v10, v4
	v_lshl_or_b32 v7, v6, 12, v0
	v_cmp_gt_i32_e32 vcc, 1, v6
	v_cndmask_b32_e32 v4, v7, v4, vcc
	v_and_b32_e32 v7, 7, v4
	v_cmp_lt_i32_e32 vcc, 5, v7
	v_cmp_eq_u32_e64 s[2:3], 3, v7
	v_lshrrev_b32_e32 v7, 2, v4
	v_cvt_f64_f32_e32 v[4:5], v5
	s_or_b64 vcc, s[2:3], vcc
	v_addc_co_u32_e32 v7, vcc, 0, v7, vcc
	v_mul_f64 v[4:5], v[4:5], s[12:13]
	v_cmp_gt_i32_e32 vcc, 31, v6
	v_cndmask_b32_e32 v7, v8, v7, vcc
	v_cmp_ne_u32_e32 vcc, 0, v0
	v_cndmask_b32_e64 v0, 0, 1, vcc
	v_lshl_or_b32 v0, v0, 9, v8
	v_cmp_eq_u32_e32 vcc, s11, v6
	v_cndmask_b32_e32 v0, v7, v0, vcc
	v_lshrrev_b32_e32 v1, 16, v1
	v_and_or_b32 v6, v1, s14, v0
	v_and_or_b32 v0, v5, s15, v4
	v_cmp_ne_u32_e32 vcc, 0, v0
	v_cndmask_b32_e64 v0, 0, 1, vcc
	v_lshrrev_b32_e32 v1, 8, v5
	v_bfe_u32 v4, v5, 20, 11
	v_and_or_b32 v0, v1, s10, v0
	v_sub_u32_e32 v7, 0x3f1, v4
	v_or_b32_e32 v1, 0x1000, v0
	v_med3_i32 v7, v7, 0, 13
	v_lshrrev_b32_e32 v10, v7, v1
	v_lshlrev_b32_e32 v7, v7, v10
	v_cmp_ne_u32_e32 vcc, v7, v1
	v_cndmask_b32_e64 v1, 0, 1, vcc
	v_add_u32_e32 v4, 0xfffffc10, v4
	v_or_b32_e32 v1, v10, v1
	v_lshl_or_b32 v7, v4, 12, v0
	v_cmp_gt_i32_e32 vcc, 1, v4
	v_cndmask_b32_e32 v1, v7, v1, vcc
	v_and_b32_e32 v7, 7, v1
	v_cmp_lt_i32_e32 vcc, 5, v7
	v_cmp_eq_u32_e64 s[2:3], 3, v7
	ds_read_b32 v7, v64 offset:7400
	v_lshrrev_b32_e32 v1, 2, v1
	s_or_b64 vcc, s[2:3], vcc
	v_addc_co_u32_e32 v1, vcc, 0, v1, vcc
	v_cmp_gt_i32_e32 vcc, 31, v4
	s_waitcnt lgkmcnt(0)
	v_lshrrev_b32_e32 v11, 16, v7
	v_cndmask_b32_e32 v10, v8, v1, vcc
	v_mul_f16_sdwa v1, v65, v11 dst_sel:DWORD dst_unused:UNUSED_PAD src0_sel:WORD_1 src1_sel:DWORD
	v_fma_f16 v1, v65, v7, v1
	v_cvt_f32_f16_e32 v1, v1
	v_cmp_ne_u32_e32 vcc, 0, v0
	v_cndmask_b32_e64 v0, 0, 1, vcc
	v_lshl_or_b32 v12, v0, 9, v8
	v_cvt_f64_f32_e32 v[0:1], v1
	v_cmp_eq_u32_e32 vcc, s11, v4
	v_cndmask_b32_e32 v4, v10, v12, vcc
	v_lshrrev_b32_e32 v5, 16, v5
	v_mul_f64 v[0:1], v[0:1], s[12:13]
	v_add_co_u32_e32 v2, vcc, s6, v2
	v_and_or_b32 v4, v5, s14, v4
	v_and_b32_e32 v5, 0xffff, v6
	v_addc_co_u32_e32 v3, vcc, v3, v9, vcc
	v_lshl_or_b32 v4, v4, 16, v5
	v_and_or_b32 v0, v1, s15, v0
	v_cmp_ne_u32_e32 vcc, 0, v0
	global_store_dword v[2:3], v4, off
	v_cndmask_b32_e64 v0, 0, 1, vcc
	v_lshrrev_b32_e32 v4, 8, v1
	v_bfe_u32 v5, v1, 20, 11
	v_and_or_b32 v0, v4, s10, v0
	v_sub_u32_e32 v6, 0x3f1, v5
	v_or_b32_e32 v4, 0x1000, v0
	v_med3_i32 v6, v6, 0, 13
	v_lshrrev_b32_e32 v10, v6, v4
	v_lshlrev_b32_e32 v6, v6, v10
	v_mul_f16_sdwa v7, v65, v7 dst_sel:DWORD dst_unused:UNUSED_PAD src0_sel:WORD_1 src1_sel:DWORD
	v_cmp_ne_u32_e32 vcc, v6, v4
	v_fma_f16 v7, v65, v11, -v7
	v_cndmask_b32_e64 v4, 0, 1, vcc
	v_add_u32_e32 v6, 0xfffffc10, v5
	v_cvt_f32_f16_e32 v7, v7
	v_or_b32_e32 v4, v10, v4
	v_lshl_or_b32 v5, v6, 12, v0
	v_cmp_gt_i32_e32 vcc, 1, v6
	v_cndmask_b32_e32 v4, v5, v4, vcc
	v_and_b32_e32 v5, 7, v4
	v_cmp_lt_i32_e32 vcc, 5, v5
	v_cmp_eq_u32_e64 s[2:3], 3, v5
	v_lshrrev_b32_e32 v10, 2, v4
	v_cvt_f64_f32_e32 v[4:5], v7
	s_or_b64 vcc, s[2:3], vcc
	v_addc_co_u32_e32 v7, vcc, 0, v10, vcc
	v_mul_f64 v[4:5], v[4:5], s[12:13]
	v_cmp_gt_i32_e32 vcc, 31, v6
	v_cndmask_b32_e32 v7, v8, v7, vcc
	v_cmp_ne_u32_e32 vcc, 0, v0
	v_cndmask_b32_e64 v0, 0, 1, vcc
	v_lshl_or_b32 v0, v0, 9, v8
	v_cmp_eq_u32_e32 vcc, s11, v6
	v_cndmask_b32_e32 v0, v7, v0, vcc
	v_lshrrev_b32_e32 v1, 16, v1
	v_and_or_b32 v0, v1, s14, v0
	v_and_or_b32 v1, v5, s15, v4
	v_cmp_ne_u32_e32 vcc, 0, v1
	v_cndmask_b32_e64 v1, 0, 1, vcc
	v_lshrrev_b32_e32 v4, 8, v5
	v_bfe_u32 v6, v5, 20, 11
	v_and_or_b32 v1, v4, s10, v1
	v_sub_u32_e32 v7, 0x3f1, v6
	v_or_b32_e32 v4, 0x1000, v1
	v_med3_i32 v7, v7, 0, 13
	v_lshrrev_b32_e32 v10, v7, v4
	v_lshlrev_b32_e32 v7, v7, v10
	v_cmp_ne_u32_e32 vcc, v7, v4
	v_cndmask_b32_e64 v4, 0, 1, vcc
	v_add_u32_e32 v6, 0xfffffc10, v6
	v_or_b32_e32 v4, v10, v4
	v_lshl_or_b32 v7, v6, 12, v1
	v_cmp_gt_i32_e32 vcc, 1, v6
	v_cndmask_b32_e32 v4, v7, v4, vcc
	v_and_b32_e32 v7, 7, v4
	v_cmp_lt_i32_e32 vcc, 5, v7
	v_cmp_eq_u32_e64 s[2:3], 3, v7
	v_lshrrev_b32_e32 v4, 2, v4
	s_or_b64 vcc, s[2:3], vcc
	v_addc_co_u32_e32 v4, vcc, 0, v4, vcc
	v_cmp_gt_i32_e32 vcc, 31, v6
	v_cndmask_b32_e32 v4, v8, v4, vcc
	v_cmp_ne_u32_e32 vcc, 0, v1
	v_cndmask_b32_e64 v1, 0, 1, vcc
	v_lshl_or_b32 v1, v1, 9, v8
	v_cmp_eq_u32_e32 vcc, s11, v6
	v_cndmask_b32_e32 v1, v4, v1, vcc
	v_lshrrev_b32_e32 v4, 16, v5
	v_and_or_b32 v1, v4, s14, v1
	v_and_b32_e32 v0, 0xffff, v0
	v_lshl_or_b32 v4, v1, 16, v0
	v_add_co_u32_e32 v0, vcc, s6, v2
	v_addc_co_u32_e32 v1, vcc, v3, v9, vcc
	global_store_dword v[0:1], v4, off
	s_and_b64 exec, exec, s[0:1]
	s_cbranch_execz .LBB0_31
; %bb.30:
	global_load_dword v2, v[47:48], off offset:1500
	ds_read_b32 v3, v64 offset:1500
	ds_read_b32 v6, v64 offset:3100
	;; [unrolled: 1-line block ×5, first 2 shown]
	s_waitcnt lgkmcnt(4)
	v_lshrrev_b32_e32 v4, 16, v3
	v_mov_b32_e32 v7, s5
	v_add_co_u32_e32 v0, vcc, s4, v0
	v_addc_co_u32_e32 v1, vcc, v1, v7, vcc
	s_waitcnt vmcnt(0)
	v_mul_f16_sdwa v5, v4, v2 dst_sel:DWORD dst_unused:UNUSED_PAD src0_sel:DWORD src1_sel:WORD_1
	v_fma_f16 v5, v3, v2, v5
	v_mul_f16_sdwa v3, v3, v2 dst_sel:DWORD dst_unused:UNUSED_PAD src0_sel:DWORD src1_sel:WORD_1
	v_cvt_f32_f16_e32 v5, v5
	v_fma_f16 v2, v2, v4, -v3
	v_cvt_f32_f16_e32 v4, v2
	v_cvt_f64_f32_e32 v[2:3], v5
	v_cvt_f64_f32_e32 v[4:5], v4
	v_mul_f64 v[2:3], v[2:3], s[12:13]
	v_mul_f64 v[4:5], v[4:5], s[12:13]
	v_and_or_b32 v2, v3, s15, v2
	v_cmp_ne_u32_e32 vcc, 0, v2
	v_and_or_b32 v4, v5, s15, v4
	v_lshrrev_b32_e32 v7, 8, v3
	v_bfe_u32 v12, v3, 20, 11
	v_cndmask_b32_e64 v2, 0, 1, vcc
	v_cmp_ne_u32_e32 vcc, 0, v4
	v_lshrrev_b32_e32 v13, 8, v5
	v_bfe_u32 v14, v5, 20, 11
	v_sub_u32_e32 v15, 0x3f1, v12
	v_cndmask_b32_e64 v4, 0, 1, vcc
	v_and_or_b32 v2, v7, s10, v2
	v_sub_u32_e32 v16, 0x3f1, v14
	v_med3_i32 v7, v15, 0, 13
	v_and_or_b32 v4, v13, s10, v4
	v_or_b32_e32 v15, 0x1000, v2
	v_add_u32_e32 v12, 0xfffffc10, v12
	v_med3_i32 v13, v16, 0, 13
	v_cmp_ne_u32_e32 vcc, 0, v2
	v_or_b32_e32 v17, 0x1000, v4
	v_lshrrev_b32_e32 v19, v7, v15
	v_add_u32_e32 v14, 0xfffffc10, v14
	v_lshl_or_b32 v16, v12, 12, v2
	v_cndmask_b32_e64 v2, 0, 1, vcc
	v_cmp_ne_u32_e32 vcc, 0, v4
	v_lshrrev_b32_e32 v20, v13, v17
	v_lshlrev_b32_e32 v7, v7, v19
	v_lshl_or_b32 v18, v14, 12, v4
	v_cndmask_b32_e64 v4, 0, 1, vcc
	v_lshlrev_b32_e32 v13, v13, v20
	v_cmp_ne_u32_e32 vcc, v7, v15
	v_cndmask_b32_e64 v7, 0, 1, vcc
	v_cmp_ne_u32_e32 vcc, v13, v17
	v_cndmask_b32_e64 v13, 0, 1, vcc
	v_or_b32_e32 v7, v19, v7
	v_cmp_gt_i32_e32 vcc, 1, v12
	v_cndmask_b32_e32 v7, v16, v7, vcc
	v_or_b32_e32 v13, v20, v13
	v_cmp_gt_i32_e32 vcc, 1, v14
	v_and_b32_e32 v15, 7, v7
	v_cndmask_b32_e32 v13, v18, v13, vcc
	v_cmp_lt_i32_e32 vcc, 5, v15
	v_cmp_eq_u32_e64 s[0:1], 3, v15
	v_lshrrev_b32_e32 v7, 2, v7
	v_and_b32_e32 v16, 7, v13
	s_or_b64 vcc, s[0:1], vcc
	v_cmp_lt_i32_e64 s[2:3], 5, v16
	v_cmp_eq_u32_e64 s[4:5], 3, v16
	v_addc_co_u32_e32 v7, vcc, 0, v7, vcc
	v_lshrrev_b32_e32 v13, 2, v13
	s_or_b64 vcc, s[4:5], s[2:3]
	v_addc_co_u32_e32 v13, vcc, 0, v13, vcc
	v_cmp_gt_i32_e32 vcc, 31, v12
	v_cndmask_b32_e32 v7, v8, v7, vcc
	v_cmp_gt_i32_e32 vcc, 31, v14
	v_lshl_or_b32 v2, v2, 9, v8
	v_cndmask_b32_e32 v13, v8, v13, vcc
	v_cmp_eq_u32_e32 vcc, s11, v12
	v_lshrrev_b32_e32 v3, 16, v3
	v_lshl_or_b32 v4, v4, 9, v8
	v_cndmask_b32_e32 v2, v7, v2, vcc
	v_cmp_eq_u32_e32 vcc, s11, v14
	v_lshrrev_b32_e32 v5, 16, v5
	v_cndmask_b32_e32 v4, v13, v4, vcc
	v_and_or_b32 v2, v3, s14, v2
	v_and_or_b32 v3, v5, s14, v4
	v_and_b32_e32 v2, 0xffff, v2
	v_lshl_or_b32 v2, v3, 16, v2
	global_store_dword v[0:1], v2, off
	global_load_dword v2, v[47:48], off offset:3100
	s_waitcnt lgkmcnt(3)
	v_lshrrev_b32_e32 v3, 16, v6
	v_mov_b32_e32 v12, s7
	s_waitcnt vmcnt(0)
	v_mul_f16_sdwa v4, v3, v2 dst_sel:DWORD dst_unused:UNUSED_PAD src0_sel:DWORD src1_sel:WORD_1
	v_fma_f16 v4, v6, v2, v4
	v_mul_f16_sdwa v5, v6, v2 dst_sel:DWORD dst_unused:UNUSED_PAD src0_sel:DWORD src1_sel:WORD_1
	v_cvt_f32_f16_e32 v4, v4
	v_fma_f16 v2, v2, v3, -v5
	v_cvt_f32_f16_e32 v5, v2
	v_add_co_u32_e32 v6, vcc, s16, v47
	v_cvt_f64_f32_e32 v[2:3], v4
	v_cvt_f64_f32_e32 v[4:5], v5
	v_addc_co_u32_e32 v7, vcc, 0, v48, vcc
	v_mul_f64 v[2:3], v[2:3], s[12:13]
	v_mul_f64 v[4:5], v[4:5], s[12:13]
	v_add_co_u32_e32 v0, vcc, s6, v0
	v_addc_co_u32_e32 v1, vcc, v1, v12, vcc
	v_and_or_b32 v2, v3, s15, v2
	v_and_or_b32 v4, v5, s15, v4
	v_cmp_ne_u32_e32 vcc, 0, v2
	v_lshrrev_b32_e32 v13, 8, v3
	v_bfe_u32 v14, v3, 20, 11
	v_cndmask_b32_e64 v2, 0, 1, vcc
	v_cmp_ne_u32_e32 vcc, 0, v4
	v_lshrrev_b32_e32 v15, 8, v5
	v_bfe_u32 v16, v5, 20, 11
	v_sub_u32_e32 v17, 0x3f1, v14
	v_cndmask_b32_e64 v4, 0, 1, vcc
	v_and_or_b32 v2, v13, s10, v2
	v_sub_u32_e32 v18, 0x3f1, v16
	v_med3_i32 v13, v17, 0, 13
	v_and_or_b32 v4, v15, s10, v4
	v_or_b32_e32 v17, 0x1000, v2
	v_add_u32_e32 v14, 0xfffffc10, v14
	v_med3_i32 v15, v18, 0, 13
	v_cmp_ne_u32_e32 vcc, 0, v2
	v_or_b32_e32 v19, 0x1000, v4
	v_lshrrev_b32_e32 v21, v13, v17
	v_add_u32_e32 v16, 0xfffffc10, v16
	v_lshl_or_b32 v18, v14, 12, v2
	v_cndmask_b32_e64 v2, 0, 1, vcc
	v_cmp_ne_u32_e32 vcc, 0, v4
	v_lshrrev_b32_e32 v22, v15, v19
	v_lshlrev_b32_e32 v13, v13, v21
	v_lshl_or_b32 v20, v16, 12, v4
	v_cndmask_b32_e64 v4, 0, 1, vcc
	v_lshlrev_b32_e32 v15, v15, v22
	v_cmp_ne_u32_e32 vcc, v13, v17
	v_cndmask_b32_e64 v13, 0, 1, vcc
	v_cmp_ne_u32_e32 vcc, v15, v19
	v_cndmask_b32_e64 v15, 0, 1, vcc
	v_or_b32_e32 v13, v21, v13
	v_cmp_gt_i32_e32 vcc, 1, v14
	v_cndmask_b32_e32 v13, v18, v13, vcc
	v_or_b32_e32 v15, v22, v15
	v_cmp_gt_i32_e32 vcc, 1, v16
	v_and_b32_e32 v17, 7, v13
	v_cndmask_b32_e32 v15, v20, v15, vcc
	v_cmp_lt_i32_e32 vcc, 5, v17
	v_cmp_eq_u32_e64 s[0:1], 3, v17
	v_lshrrev_b32_e32 v13, 2, v13
	v_and_b32_e32 v18, 7, v15
	s_or_b64 vcc, s[0:1], vcc
	v_cmp_lt_i32_e64 s[2:3], 5, v18
	v_cmp_eq_u32_e64 s[4:5], 3, v18
	v_addc_co_u32_e32 v13, vcc, 0, v13, vcc
	v_lshrrev_b32_e32 v15, 2, v15
	s_or_b64 vcc, s[4:5], s[2:3]
	v_addc_co_u32_e32 v15, vcc, 0, v15, vcc
	v_cmp_gt_i32_e32 vcc, 31, v14
	v_cndmask_b32_e32 v13, v8, v13, vcc
	v_cmp_gt_i32_e32 vcc, 31, v16
	v_lshl_or_b32 v2, v2, 9, v8
	v_cndmask_b32_e32 v15, v8, v15, vcc
	v_cmp_eq_u32_e32 vcc, s11, v14
	v_lshrrev_b32_e32 v3, 16, v3
	v_lshl_or_b32 v4, v4, 9, v8
	v_cndmask_b32_e32 v2, v13, v2, vcc
	v_cmp_eq_u32_e32 vcc, s11, v16
	v_lshrrev_b32_e32 v5, 16, v5
	v_cndmask_b32_e32 v4, v15, v4, vcc
	v_and_or_b32 v2, v3, s14, v2
	v_and_or_b32 v3, v5, s14, v4
	v_and_b32_e32 v2, 0xffff, v2
	v_lshl_or_b32 v2, v3, 16, v2
	global_store_dword v[0:1], v2, off
	global_load_dword v2, v[6:7], off offset:604
	s_waitcnt lgkmcnt(2)
	v_lshrrev_b32_e32 v3, 16, v9
	v_add_co_u32_e32 v0, vcc, s6, v0
	v_addc_co_u32_e32 v1, vcc, v1, v12, vcc
	s_waitcnt vmcnt(0)
	v_mul_f16_sdwa v4, v3, v2 dst_sel:DWORD dst_unused:UNUSED_PAD src0_sel:DWORD src1_sel:WORD_1
	v_fma_f16 v4, v9, v2, v4
	v_mul_f16_sdwa v5, v9, v2 dst_sel:DWORD dst_unused:UNUSED_PAD src0_sel:DWORD src1_sel:WORD_1
	v_cvt_f32_f16_e32 v4, v4
	v_fma_f16 v2, v2, v3, -v5
	v_cvt_f32_f16_e32 v5, v2
	v_cvt_f64_f32_e32 v[2:3], v4
	v_cvt_f64_f32_e32 v[4:5], v5
	v_mul_f64 v[2:3], v[2:3], s[12:13]
	v_mul_f64 v[4:5], v[4:5], s[12:13]
	v_and_or_b32 v2, v3, s15, v2
	v_cmp_ne_u32_e32 vcc, 0, v2
	v_and_or_b32 v4, v5, s15, v4
	v_lshrrev_b32_e32 v9, 8, v3
	v_bfe_u32 v13, v3, 20, 11
	v_cndmask_b32_e64 v2, 0, 1, vcc
	v_cmp_ne_u32_e32 vcc, 0, v4
	v_lshrrev_b32_e32 v14, 8, v5
	v_bfe_u32 v15, v5, 20, 11
	v_sub_u32_e32 v16, 0x3f1, v13
	v_cndmask_b32_e64 v4, 0, 1, vcc
	v_and_or_b32 v2, v9, s10, v2
	v_sub_u32_e32 v17, 0x3f1, v15
	v_med3_i32 v9, v16, 0, 13
	v_and_or_b32 v4, v14, s10, v4
	v_or_b32_e32 v16, 0x1000, v2
	v_add_u32_e32 v13, 0xfffffc10, v13
	v_med3_i32 v14, v17, 0, 13
	v_cmp_ne_u32_e32 vcc, 0, v2
	v_or_b32_e32 v18, 0x1000, v4
	v_lshrrev_b32_e32 v20, v9, v16
	v_add_u32_e32 v15, 0xfffffc10, v15
	v_lshl_or_b32 v17, v13, 12, v2
	v_cndmask_b32_e64 v2, 0, 1, vcc
	v_cmp_ne_u32_e32 vcc, 0, v4
	v_lshrrev_b32_e32 v21, v14, v18
	v_lshlrev_b32_e32 v9, v9, v20
	v_lshl_or_b32 v19, v15, 12, v4
	v_cndmask_b32_e64 v4, 0, 1, vcc
	v_lshlrev_b32_e32 v14, v14, v21
	v_cmp_ne_u32_e32 vcc, v9, v16
	v_cndmask_b32_e64 v9, 0, 1, vcc
	v_cmp_ne_u32_e32 vcc, v14, v18
	v_cndmask_b32_e64 v14, 0, 1, vcc
	v_or_b32_e32 v9, v20, v9
	v_cmp_gt_i32_e32 vcc, 1, v13
	v_cndmask_b32_e32 v9, v17, v9, vcc
	v_or_b32_e32 v14, v21, v14
	v_cmp_gt_i32_e32 vcc, 1, v15
	v_and_b32_e32 v16, 7, v9
	v_cndmask_b32_e32 v14, v19, v14, vcc
	v_cmp_lt_i32_e32 vcc, 5, v16
	v_cmp_eq_u32_e64 s[0:1], 3, v16
	v_lshrrev_b32_e32 v9, 2, v9
	v_and_b32_e32 v17, 7, v14
	s_or_b64 vcc, s[0:1], vcc
	v_cmp_lt_i32_e64 s[2:3], 5, v17
	v_cmp_eq_u32_e64 s[4:5], 3, v17
	v_addc_co_u32_e32 v9, vcc, 0, v9, vcc
	v_lshrrev_b32_e32 v14, 2, v14
	s_or_b64 vcc, s[4:5], s[2:3]
	v_addc_co_u32_e32 v14, vcc, 0, v14, vcc
	v_cmp_gt_i32_e32 vcc, 31, v13
	v_cndmask_b32_e32 v9, v8, v9, vcc
	v_cmp_gt_i32_e32 vcc, 31, v15
	v_lshl_or_b32 v2, v2, 9, v8
	v_cndmask_b32_e32 v14, v8, v14, vcc
	v_cmp_eq_u32_e32 vcc, s11, v13
	v_lshrrev_b32_e32 v3, 16, v3
	v_lshl_or_b32 v4, v4, 9, v8
	v_cndmask_b32_e32 v2, v9, v2, vcc
	v_cmp_eq_u32_e32 vcc, s11, v15
	v_lshrrev_b32_e32 v5, 16, v5
	v_cndmask_b32_e32 v4, v14, v4, vcc
	v_and_or_b32 v2, v3, s14, v2
	v_and_or_b32 v3, v5, s14, v4
	v_and_b32_e32 v2, 0xffff, v2
	v_lshl_or_b32 v2, v3, 16, v2
	global_store_dword v[0:1], v2, off
	global_load_dword v2, v[6:7], off offset:2204
	s_waitcnt lgkmcnt(1)
	v_lshrrev_b32_e32 v3, 16, v10
	v_add_co_u32_e32 v0, vcc, s6, v0
	v_addc_co_u32_e32 v1, vcc, v1, v12, vcc
	s_waitcnt vmcnt(0)
	v_mul_f16_sdwa v4, v3, v2 dst_sel:DWORD dst_unused:UNUSED_PAD src0_sel:DWORD src1_sel:WORD_1
	v_fma_f16 v4, v10, v2, v4
	v_mul_f16_sdwa v5, v10, v2 dst_sel:DWORD dst_unused:UNUSED_PAD src0_sel:DWORD src1_sel:WORD_1
	v_cvt_f32_f16_e32 v4, v4
	v_fma_f16 v2, v2, v3, -v5
	v_cvt_f32_f16_e32 v5, v2
	v_cvt_f64_f32_e32 v[2:3], v4
	v_cvt_f64_f32_e32 v[4:5], v5
	v_mul_f64 v[2:3], v[2:3], s[12:13]
	v_mul_f64 v[4:5], v[4:5], s[12:13]
	v_and_or_b32 v2, v3, s15, v2
	v_cmp_ne_u32_e32 vcc, 0, v2
	v_and_or_b32 v4, v5, s15, v4
	v_lshrrev_b32_e32 v9, 8, v3
	v_bfe_u32 v10, v3, 20, 11
	v_cndmask_b32_e64 v2, 0, 1, vcc
	v_cmp_ne_u32_e32 vcc, 0, v4
	v_lshrrev_b32_e32 v13, 8, v5
	v_bfe_u32 v14, v5, 20, 11
	v_sub_u32_e32 v15, 0x3f1, v10
	v_cndmask_b32_e64 v4, 0, 1, vcc
	v_and_or_b32 v2, v9, s10, v2
	v_sub_u32_e32 v16, 0x3f1, v14
	v_med3_i32 v9, v15, 0, 13
	v_and_or_b32 v4, v13, s10, v4
	v_or_b32_e32 v15, 0x1000, v2
	v_add_u32_e32 v10, 0xfffffc10, v10
	v_med3_i32 v13, v16, 0, 13
	v_cmp_ne_u32_e32 vcc, 0, v2
	v_or_b32_e32 v17, 0x1000, v4
	v_lshrrev_b32_e32 v19, v9, v15
	v_add_u32_e32 v14, 0xfffffc10, v14
	v_lshl_or_b32 v16, v10, 12, v2
	v_cndmask_b32_e64 v2, 0, 1, vcc
	v_cmp_ne_u32_e32 vcc, 0, v4
	v_lshrrev_b32_e32 v20, v13, v17
	v_lshlrev_b32_e32 v9, v9, v19
	v_lshl_or_b32 v18, v14, 12, v4
	v_cndmask_b32_e64 v4, 0, 1, vcc
	v_lshlrev_b32_e32 v13, v13, v20
	v_cmp_ne_u32_e32 vcc, v9, v15
	v_cndmask_b32_e64 v9, 0, 1, vcc
	v_cmp_ne_u32_e32 vcc, v13, v17
	v_cndmask_b32_e64 v13, 0, 1, vcc
	v_or_b32_e32 v9, v19, v9
	v_cmp_gt_i32_e32 vcc, 1, v10
	v_cndmask_b32_e32 v9, v16, v9, vcc
	v_or_b32_e32 v13, v20, v13
	v_cmp_gt_i32_e32 vcc, 1, v14
	v_and_b32_e32 v15, 7, v9
	v_cndmask_b32_e32 v13, v18, v13, vcc
	v_cmp_lt_i32_e32 vcc, 5, v15
	v_cmp_eq_u32_e64 s[0:1], 3, v15
	v_lshrrev_b32_e32 v9, 2, v9
	v_and_b32_e32 v16, 7, v13
	s_or_b64 vcc, s[0:1], vcc
	v_cmp_lt_i32_e64 s[2:3], 5, v16
	v_cmp_eq_u32_e64 s[4:5], 3, v16
	v_addc_co_u32_e32 v9, vcc, 0, v9, vcc
	v_lshrrev_b32_e32 v13, 2, v13
	s_or_b64 vcc, s[4:5], s[2:3]
	v_addc_co_u32_e32 v13, vcc, 0, v13, vcc
	v_cmp_gt_i32_e32 vcc, 31, v10
	v_cndmask_b32_e32 v9, v8, v9, vcc
	v_cmp_gt_i32_e32 vcc, 31, v14
	v_lshl_or_b32 v2, v2, 9, v8
	v_cndmask_b32_e32 v13, v8, v13, vcc
	v_cmp_eq_u32_e32 vcc, s11, v10
	v_lshrrev_b32_e32 v3, 16, v3
	v_lshl_or_b32 v4, v4, 9, v8
	v_cndmask_b32_e32 v2, v9, v2, vcc
	v_cmp_eq_u32_e32 vcc, s11, v14
	v_lshrrev_b32_e32 v5, 16, v5
	v_cndmask_b32_e32 v4, v13, v4, vcc
	v_and_or_b32 v2, v3, s14, v2
	v_and_or_b32 v3, v5, s14, v4
	v_and_b32_e32 v2, 0xffff, v2
	v_lshl_or_b32 v2, v3, 16, v2
	global_store_dword v[0:1], v2, off
	global_load_dword v2, v[6:7], off offset:3804
	s_waitcnt lgkmcnt(0)
	v_lshrrev_b32_e32 v3, 16, v11
	s_waitcnt vmcnt(0)
	v_mul_f16_sdwa v4, v3, v2 dst_sel:DWORD dst_unused:UNUSED_PAD src0_sel:DWORD src1_sel:WORD_1
	v_fma_f16 v4, v11, v2, v4
	v_mul_f16_sdwa v5, v11, v2 dst_sel:DWORD dst_unused:UNUSED_PAD src0_sel:DWORD src1_sel:WORD_1
	v_cvt_f32_f16_e32 v4, v4
	v_fma_f16 v2, v2, v3, -v5
	v_cvt_f32_f16_e32 v5, v2
	v_cvt_f64_f32_e32 v[2:3], v4
	v_cvt_f64_f32_e32 v[4:5], v5
	v_mul_f64 v[2:3], v[2:3], s[12:13]
	v_mul_f64 v[4:5], v[4:5], s[12:13]
	v_and_or_b32 v2, v3, s15, v2
	v_cmp_ne_u32_e32 vcc, 0, v2
	v_and_or_b32 v4, v5, s15, v4
	v_lshrrev_b32_e32 v6, 8, v3
	v_bfe_u32 v7, v3, 20, 11
	v_cndmask_b32_e64 v2, 0, 1, vcc
	v_cmp_ne_u32_e32 vcc, 0, v4
	v_lshrrev_b32_e32 v9, 8, v5
	v_bfe_u32 v10, v5, 20, 11
	v_sub_u32_e32 v11, 0x3f1, v7
	v_cndmask_b32_e64 v4, 0, 1, vcc
	v_and_or_b32 v2, v6, s10, v2
	v_sub_u32_e32 v13, 0x3f1, v10
	v_med3_i32 v6, v11, 0, 13
	v_and_or_b32 v4, v9, s10, v4
	v_or_b32_e32 v11, 0x1000, v2
	v_add_u32_e32 v7, 0xfffffc10, v7
	v_med3_i32 v9, v13, 0, 13
	v_cmp_ne_u32_e32 vcc, 0, v2
	v_or_b32_e32 v14, 0x1000, v4
	v_lshrrev_b32_e32 v16, v6, v11
	v_add_u32_e32 v10, 0xfffffc10, v10
	v_lshl_or_b32 v13, v7, 12, v2
	v_cndmask_b32_e64 v2, 0, 1, vcc
	v_cmp_ne_u32_e32 vcc, 0, v4
	v_lshrrev_b32_e32 v17, v9, v14
	v_lshlrev_b32_e32 v6, v6, v16
	v_lshl_or_b32 v15, v10, 12, v4
	v_cndmask_b32_e64 v4, 0, 1, vcc
	v_lshlrev_b32_e32 v9, v9, v17
	v_cmp_ne_u32_e32 vcc, v6, v11
	v_cndmask_b32_e64 v6, 0, 1, vcc
	v_cmp_ne_u32_e32 vcc, v9, v14
	v_cndmask_b32_e64 v9, 0, 1, vcc
	v_or_b32_e32 v6, v16, v6
	v_cmp_gt_i32_e32 vcc, 1, v7
	v_cndmask_b32_e32 v6, v13, v6, vcc
	v_or_b32_e32 v9, v17, v9
	v_cmp_gt_i32_e32 vcc, 1, v10
	v_and_b32_e32 v11, 7, v6
	v_cndmask_b32_e32 v9, v15, v9, vcc
	v_cmp_lt_i32_e32 vcc, 5, v11
	v_cmp_eq_u32_e64 s[0:1], 3, v11
	v_lshrrev_b32_e32 v6, 2, v6
	v_and_b32_e32 v13, 7, v9
	s_or_b64 vcc, s[0:1], vcc
	v_cmp_lt_i32_e64 s[2:3], 5, v13
	v_cmp_eq_u32_e64 s[4:5], 3, v13
	v_addc_co_u32_e32 v6, vcc, 0, v6, vcc
	v_lshrrev_b32_e32 v9, 2, v9
	s_or_b64 vcc, s[4:5], s[2:3]
	v_addc_co_u32_e32 v9, vcc, 0, v9, vcc
	v_cmp_gt_i32_e32 vcc, 31, v7
	v_cndmask_b32_e32 v6, v8, v6, vcc
	v_cmp_gt_i32_e32 vcc, 31, v10
	v_lshl_or_b32 v2, v2, 9, v8
	v_lshl_or_b32 v4, v4, 9, v8
	v_cndmask_b32_e32 v8, v8, v9, vcc
	v_cmp_eq_u32_e32 vcc, s11, v7
	v_lshrrev_b32_e32 v3, 16, v3
	v_cndmask_b32_e32 v2, v6, v2, vcc
	v_cmp_eq_u32_e32 vcc, s11, v10
	v_lshrrev_b32_e32 v5, 16, v5
	v_cndmask_b32_e32 v4, v8, v4, vcc
	v_and_or_b32 v2, v3, s14, v2
	v_and_or_b32 v3, v5, s14, v4
	v_and_b32_e32 v2, 0xffff, v2
	v_add_co_u32_e32 v0, vcc, s6, v0
	v_lshl_or_b32 v2, v3, 16, v2
	v_addc_co_u32_e32 v1, vcc, v1, v12, vcc
	global_store_dword v[0:1], v2, off
.LBB0_31:
	s_endpgm
	.section	.rodata,"a",@progbits
	.p2align	6, 0x0
	.amdhsa_kernel bluestein_single_back_len2000_dim1_half_op_CI_CI
		.amdhsa_group_segment_fixed_size 8000
		.amdhsa_private_segment_fixed_size 0
		.amdhsa_kernarg_size 104
		.amdhsa_user_sgpr_count 6
		.amdhsa_user_sgpr_private_segment_buffer 1
		.amdhsa_user_sgpr_dispatch_ptr 0
		.amdhsa_user_sgpr_queue_ptr 0
		.amdhsa_user_sgpr_kernarg_segment_ptr 1
		.amdhsa_user_sgpr_dispatch_id 0
		.amdhsa_user_sgpr_flat_scratch_init 0
		.amdhsa_user_sgpr_private_segment_size 0
		.amdhsa_uses_dynamic_stack 0
		.amdhsa_system_sgpr_private_segment_wavefront_offset 0
		.amdhsa_system_sgpr_workgroup_id_x 1
		.amdhsa_system_sgpr_workgroup_id_y 0
		.amdhsa_system_sgpr_workgroup_id_z 0
		.amdhsa_system_sgpr_workgroup_info 0
		.amdhsa_system_vgpr_workitem_id 0
		.amdhsa_next_free_vgpr 149
		.amdhsa_next_free_sgpr 20
		.amdhsa_reserve_vcc 1
		.amdhsa_reserve_flat_scratch 0
		.amdhsa_float_round_mode_32 0
		.amdhsa_float_round_mode_16_64 0
		.amdhsa_float_denorm_mode_32 3
		.amdhsa_float_denorm_mode_16_64 3
		.amdhsa_dx10_clamp 1
		.amdhsa_ieee_mode 1
		.amdhsa_fp16_overflow 0
		.amdhsa_exception_fp_ieee_invalid_op 0
		.amdhsa_exception_fp_denorm_src 0
		.amdhsa_exception_fp_ieee_div_zero 0
		.amdhsa_exception_fp_ieee_overflow 0
		.amdhsa_exception_fp_ieee_underflow 0
		.amdhsa_exception_fp_ieee_inexact 0
		.amdhsa_exception_int_div_zero 0
	.end_amdhsa_kernel
	.text
.Lfunc_end0:
	.size	bluestein_single_back_len2000_dim1_half_op_CI_CI, .Lfunc_end0-bluestein_single_back_len2000_dim1_half_op_CI_CI
                                        ; -- End function
	.section	.AMDGPU.csdata,"",@progbits
; Kernel info:
; codeLenInByte = 30812
; NumSgprs: 24
; NumVgprs: 149
; ScratchSize: 0
; MemoryBound: 0
; FloatMode: 240
; IeeeMode: 1
; LDSByteSize: 8000 bytes/workgroup (compile time only)
; SGPRBlocks: 2
; VGPRBlocks: 37
; NumSGPRsForWavesPerEU: 24
; NumVGPRsForWavesPerEU: 149
; Occupancy: 1
; WaveLimiterHint : 1
; COMPUTE_PGM_RSRC2:SCRATCH_EN: 0
; COMPUTE_PGM_RSRC2:USER_SGPR: 6
; COMPUTE_PGM_RSRC2:TRAP_HANDLER: 0
; COMPUTE_PGM_RSRC2:TGID_X_EN: 1
; COMPUTE_PGM_RSRC2:TGID_Y_EN: 0
; COMPUTE_PGM_RSRC2:TGID_Z_EN: 0
; COMPUTE_PGM_RSRC2:TIDIG_COMP_CNT: 0
	.type	__hip_cuid_ae4232be5a7ad962,@object ; @__hip_cuid_ae4232be5a7ad962
	.section	.bss,"aw",@nobits
	.globl	__hip_cuid_ae4232be5a7ad962
__hip_cuid_ae4232be5a7ad962:
	.byte	0                               ; 0x0
	.size	__hip_cuid_ae4232be5a7ad962, 1

	.ident	"AMD clang version 19.0.0git (https://github.com/RadeonOpenCompute/llvm-project roc-6.4.0 25133 c7fe45cf4b819c5991fe208aaa96edf142730f1d)"
	.section	".note.GNU-stack","",@progbits
	.addrsig
	.addrsig_sym __hip_cuid_ae4232be5a7ad962
	.amdgpu_metadata
---
amdhsa.kernels:
  - .args:
      - .actual_access:  read_only
        .address_space:  global
        .offset:         0
        .size:           8
        .value_kind:     global_buffer
      - .actual_access:  read_only
        .address_space:  global
        .offset:         8
        .size:           8
        .value_kind:     global_buffer
      - .actual_access:  read_only
        .address_space:  global
        .offset:         16
        .size:           8
        .value_kind:     global_buffer
      - .actual_access:  read_only
        .address_space:  global
        .offset:         24
        .size:           8
        .value_kind:     global_buffer
      - .actual_access:  read_only
        .address_space:  global
        .offset:         32
        .size:           8
        .value_kind:     global_buffer
      - .offset:         40
        .size:           8
        .value_kind:     by_value
      - .address_space:  global
        .offset:         48
        .size:           8
        .value_kind:     global_buffer
      - .address_space:  global
        .offset:         56
        .size:           8
        .value_kind:     global_buffer
      - .address_space:  global
        .offset:         64
        .size:           8
        .value_kind:     global_buffer
      - .address_space:  global
        .offset:         72
        .size:           8
        .value_kind:     global_buffer
      - .offset:         80
        .size:           4
        .value_kind:     by_value
      - .address_space:  global
        .offset:         88
        .size:           8
        .value_kind:     global_buffer
      - .address_space:  global
        .offset:         96
        .size:           8
        .value_kind:     global_buffer
    .group_segment_fixed_size: 8000
    .kernarg_segment_align: 8
    .kernarg_segment_size: 104
    .language:       OpenCL C
    .language_version:
      - 2
      - 0
    .max_flat_workgroup_size: 125
    .name:           bluestein_single_back_len2000_dim1_half_op_CI_CI
    .private_segment_fixed_size: 0
    .sgpr_count:     24
    .sgpr_spill_count: 0
    .symbol:         bluestein_single_back_len2000_dim1_half_op_CI_CI.kd
    .uniform_work_group_size: 1
    .uses_dynamic_stack: false
    .vgpr_count:     149
    .vgpr_spill_count: 0
    .wavefront_size: 64
amdhsa.target:   amdgcn-amd-amdhsa--gfx906
amdhsa.version:
  - 1
  - 2
...

	.end_amdgpu_metadata
